;; amdgpu-corpus repo=ROCm/composable_kernel kind=compiled arch=gfx1100 opt=O3
	.text
	.amdgcn_target "amdgcn-amd-amdhsa--gfx1100"
	.amdhsa_code_object_version 6
	.section	.text._ZN2ckL12flush_icacheEv,"axG",@progbits,_ZN2ckL12flush_icacheEv,comdat
	.globl	_ZN2ckL12flush_icacheEv         ; -- Begin function _ZN2ckL12flush_icacheEv
	.p2align	8
	.type	_ZN2ckL12flush_icacheEv,@function
_ZN2ckL12flush_icacheEv:                ; @_ZN2ckL12flush_icacheEv
; %bb.0:
	;;#ASMSTART
	s_icache_inv 
	s_nop 0 
	s_nop 0 
	;; [unrolled: 1-line block ×16, first 2 shown]
	
	;;#ASMEND
	s_endpgm
	.section	.rodata,"a",@progbits
	.p2align	6, 0x0
	.amdhsa_kernel _ZN2ckL12flush_icacheEv
		.amdhsa_group_segment_fixed_size 0
		.amdhsa_private_segment_fixed_size 0
		.amdhsa_kernarg_size 0
		.amdhsa_user_sgpr_count 15
		.amdhsa_user_sgpr_dispatch_ptr 0
		.amdhsa_user_sgpr_queue_ptr 0
		.amdhsa_user_sgpr_kernarg_segment_ptr 0
		.amdhsa_user_sgpr_dispatch_id 0
		.amdhsa_user_sgpr_private_segment_size 0
		.amdhsa_wavefront_size32 1
		.amdhsa_uses_dynamic_stack 0
		.amdhsa_enable_private_segment 0
		.amdhsa_system_sgpr_workgroup_id_x 1
		.amdhsa_system_sgpr_workgroup_id_y 0
		.amdhsa_system_sgpr_workgroup_id_z 0
		.amdhsa_system_sgpr_workgroup_info 0
		.amdhsa_system_vgpr_workitem_id 0
		.amdhsa_next_free_vgpr 1
		.amdhsa_next_free_sgpr 1
		.amdhsa_reserve_vcc 0
		.amdhsa_float_round_mode_32 0
		.amdhsa_float_round_mode_16_64 0
		.amdhsa_float_denorm_mode_32 3
		.amdhsa_float_denorm_mode_16_64 3
		.amdhsa_dx10_clamp 1
		.amdhsa_ieee_mode 1
		.amdhsa_fp16_overflow 0
		.amdhsa_workgroup_processor_mode 1
		.amdhsa_memory_ordered 1
		.amdhsa_forward_progress 0
		.amdhsa_shared_vgpr_count 0
		.amdhsa_exception_fp_ieee_invalid_op 0
		.amdhsa_exception_fp_denorm_src 0
		.amdhsa_exception_fp_ieee_div_zero 0
		.amdhsa_exception_fp_ieee_overflow 0
		.amdhsa_exception_fp_ieee_underflow 0
		.amdhsa_exception_fp_ieee_inexact 0
		.amdhsa_exception_int_div_zero 0
	.end_amdhsa_kernel
	.section	.text._ZN2ckL12flush_icacheEv,"axG",@progbits,_ZN2ckL12flush_icacheEv,comdat
.Lfunc_end0:
	.size	_ZN2ckL12flush_icacheEv, .Lfunc_end0-_ZN2ckL12flush_icacheEv
                                        ; -- End function
	.section	.AMDGPU.csdata,"",@progbits
; Kernel info:
; codeLenInByte = 344
; NumSgprs: 0
; NumVgprs: 0
; ScratchSize: 0
; MemoryBound: 0
; FloatMode: 240
; IeeeMode: 1
; LDSByteSize: 0 bytes/workgroup (compile time only)
; SGPRBlocks: 0
; VGPRBlocks: 0
; NumSGPRsForWavesPerEU: 1
; NumVGPRsForWavesPerEU: 1
; Occupancy: 16
; WaveLimiterHint : 0
; COMPUTE_PGM_RSRC2:SCRATCH_EN: 0
; COMPUTE_PGM_RSRC2:USER_SGPR: 15
; COMPUTE_PGM_RSRC2:TRAP_HANDLER: 0
; COMPUTE_PGM_RSRC2:TGID_X_EN: 1
; COMPUTE_PGM_RSRC2:TGID_Y_EN: 0
; COMPUTE_PGM_RSRC2:TGID_Z_EN: 0
; COMPUTE_PGM_RSRC2:TIDIG_COMP_CNT: 0
	.section	.text._ZN2ck27kernel_gemm_xdl_cshuffle_v2INS_28GridwiseGemm_xdl_cshuffle_v2INS_13tensor_layout4gemm8RowMajorES4_S4_DF16_DF16_fDF16_DF16_NS_16tensor_operation12element_wise11PassThroughES7_S7_LNS5_6device18GemmSpecializationE0ELNS_25InMemoryDataOperationEnumE0ELi2ELi256ELi256ELi256ELi32ELi8ELi4ELi16ELi16ELi8ELi8ENS_8SequenceIJLi4ELi64ELi1EEEENSB_IJLi1ELi0ELi2EEEESD_Li2ELi8ELi8ELb0ELi0ENSB_IJLi8ELi32ELi1EEEENSB_IJLi0ELi2ELi1EEEESF_Li1ELi8ELi4ELb0ELi0ELi1ELi1ENSB_IJLi1ELi32ELi1ELi8EEEELi4ELNS_13LoopSchedulerE0ELNS_15PipelineVersionE0EDF16_DF16_EELb1ELi3EEEvNT_8ArgumentE,"axG",@progbits,_ZN2ck27kernel_gemm_xdl_cshuffle_v2INS_28GridwiseGemm_xdl_cshuffle_v2INS_13tensor_layout4gemm8RowMajorES4_S4_DF16_DF16_fDF16_DF16_NS_16tensor_operation12element_wise11PassThroughES7_S7_LNS5_6device18GemmSpecializationE0ELNS_25InMemoryDataOperationEnumE0ELi2ELi256ELi256ELi256ELi32ELi8ELi4ELi16ELi16ELi8ELi8ENS_8SequenceIJLi4ELi64ELi1EEEENSB_IJLi1ELi0ELi2EEEESD_Li2ELi8ELi8ELb0ELi0ENSB_IJLi8ELi32ELi1EEEENSB_IJLi0ELi2ELi1EEEESF_Li1ELi8ELi4ELb0ELi0ELi1ELi1ENSB_IJLi1ELi32ELi1ELi8EEEELi4ELNS_13LoopSchedulerE0ELNS_15PipelineVersionE0EDF16_DF16_EELb1ELi3EEEvNT_8ArgumentE,comdat
	.protected	_ZN2ck27kernel_gemm_xdl_cshuffle_v2INS_28GridwiseGemm_xdl_cshuffle_v2INS_13tensor_layout4gemm8RowMajorES4_S4_DF16_DF16_fDF16_DF16_NS_16tensor_operation12element_wise11PassThroughES7_S7_LNS5_6device18GemmSpecializationE0ELNS_25InMemoryDataOperationEnumE0ELi2ELi256ELi256ELi256ELi32ELi8ELi4ELi16ELi16ELi8ELi8ENS_8SequenceIJLi4ELi64ELi1EEEENSB_IJLi1ELi0ELi2EEEESD_Li2ELi8ELi8ELb0ELi0ENSB_IJLi8ELi32ELi1EEEENSB_IJLi0ELi2ELi1EEEESF_Li1ELi8ELi4ELb0ELi0ELi1ELi1ENSB_IJLi1ELi32ELi1ELi8EEEELi4ELNS_13LoopSchedulerE0ELNS_15PipelineVersionE0EDF16_DF16_EELb1ELi3EEEvNT_8ArgumentE ; -- Begin function _ZN2ck27kernel_gemm_xdl_cshuffle_v2INS_28GridwiseGemm_xdl_cshuffle_v2INS_13tensor_layout4gemm8RowMajorES4_S4_DF16_DF16_fDF16_DF16_NS_16tensor_operation12element_wise11PassThroughES7_S7_LNS5_6device18GemmSpecializationE0ELNS_25InMemoryDataOperationEnumE0ELi2ELi256ELi256ELi256ELi32ELi8ELi4ELi16ELi16ELi8ELi8ENS_8SequenceIJLi4ELi64ELi1EEEENSB_IJLi1ELi0ELi2EEEESD_Li2ELi8ELi8ELb0ELi0ENSB_IJLi8ELi32ELi1EEEENSB_IJLi0ELi2ELi1EEEESF_Li1ELi8ELi4ELb0ELi0ELi1ELi1ENSB_IJLi1ELi32ELi1ELi8EEEELi4ELNS_13LoopSchedulerE0ELNS_15PipelineVersionE0EDF16_DF16_EELb1ELi3EEEvNT_8ArgumentE
	.globl	_ZN2ck27kernel_gemm_xdl_cshuffle_v2INS_28GridwiseGemm_xdl_cshuffle_v2INS_13tensor_layout4gemm8RowMajorES4_S4_DF16_DF16_fDF16_DF16_NS_16tensor_operation12element_wise11PassThroughES7_S7_LNS5_6device18GemmSpecializationE0ELNS_25InMemoryDataOperationEnumE0ELi2ELi256ELi256ELi256ELi32ELi8ELi4ELi16ELi16ELi8ELi8ENS_8SequenceIJLi4ELi64ELi1EEEENSB_IJLi1ELi0ELi2EEEESD_Li2ELi8ELi8ELb0ELi0ENSB_IJLi8ELi32ELi1EEEENSB_IJLi0ELi2ELi1EEEESF_Li1ELi8ELi4ELb0ELi0ELi1ELi1ENSB_IJLi1ELi32ELi1ELi8EEEELi4ELNS_13LoopSchedulerE0ELNS_15PipelineVersionE0EDF16_DF16_EELb1ELi3EEEvNT_8ArgumentE
	.p2align	8
	.type	_ZN2ck27kernel_gemm_xdl_cshuffle_v2INS_28GridwiseGemm_xdl_cshuffle_v2INS_13tensor_layout4gemm8RowMajorES4_S4_DF16_DF16_fDF16_DF16_NS_16tensor_operation12element_wise11PassThroughES7_S7_LNS5_6device18GemmSpecializationE0ELNS_25InMemoryDataOperationEnumE0ELi2ELi256ELi256ELi256ELi32ELi8ELi4ELi16ELi16ELi8ELi8ENS_8SequenceIJLi4ELi64ELi1EEEENSB_IJLi1ELi0ELi2EEEESD_Li2ELi8ELi8ELb0ELi0ENSB_IJLi8ELi32ELi1EEEENSB_IJLi0ELi2ELi1EEEESF_Li1ELi8ELi4ELb0ELi0ELi1ELi1ENSB_IJLi1ELi32ELi1ELi8EEEELi4ELNS_13LoopSchedulerE0ELNS_15PipelineVersionE0EDF16_DF16_EELb1ELi3EEEvNT_8ArgumentE,@function
_ZN2ck27kernel_gemm_xdl_cshuffle_v2INS_28GridwiseGemm_xdl_cshuffle_v2INS_13tensor_layout4gemm8RowMajorES4_S4_DF16_DF16_fDF16_DF16_NS_16tensor_operation12element_wise11PassThroughES7_S7_LNS5_6device18GemmSpecializationE0ELNS_25InMemoryDataOperationEnumE0ELi2ELi256ELi256ELi256ELi32ELi8ELi4ELi16ELi16ELi8ELi8ENS_8SequenceIJLi4ELi64ELi1EEEENSB_IJLi1ELi0ELi2EEEESD_Li2ELi8ELi8ELb0ELi0ENSB_IJLi8ELi32ELi1EEEENSB_IJLi0ELi2ELi1EEEESF_Li1ELi8ELi4ELb0ELi0ELi1ELi1ENSB_IJLi1ELi32ELi1ELi8EEEELi4ELNS_13LoopSchedulerE0ELNS_15PipelineVersionE0EDF16_DF16_EELb1ELi3EEEvNT_8ArgumentE: ; @_ZN2ck27kernel_gemm_xdl_cshuffle_v2INS_28GridwiseGemm_xdl_cshuffle_v2INS_13tensor_layout4gemm8RowMajorES4_S4_DF16_DF16_fDF16_DF16_NS_16tensor_operation12element_wise11PassThroughES7_S7_LNS5_6device18GemmSpecializationE0ELNS_25InMemoryDataOperationEnumE0ELi2ELi256ELi256ELi256ELi32ELi8ELi4ELi16ELi16ELi8ELi8ENS_8SequenceIJLi4ELi64ELi1EEEENSB_IJLi1ELi0ELi2EEEESD_Li2ELi8ELi8ELb0ELi0ENSB_IJLi8ELi32ELi1EEEENSB_IJLi0ELi2ELi1EEEESF_Li1ELi8ELi4ELb0ELi0ELi1ELi1ENSB_IJLi1ELi32ELi1ELi8EEEELi4ELNS_13LoopSchedulerE0ELNS_15PipelineVersionE0EDF16_DF16_EELb1ELi3EEEvNT_8ArgumentE
; %bb.0:
	s_endpgm
	.section	.rodata,"a",@progbits
	.p2align	6, 0x0
	.amdhsa_kernel _ZN2ck27kernel_gemm_xdl_cshuffle_v2INS_28GridwiseGemm_xdl_cshuffle_v2INS_13tensor_layout4gemm8RowMajorES4_S4_DF16_DF16_fDF16_DF16_NS_16tensor_operation12element_wise11PassThroughES7_S7_LNS5_6device18GemmSpecializationE0ELNS_25InMemoryDataOperationEnumE0ELi2ELi256ELi256ELi256ELi32ELi8ELi4ELi16ELi16ELi8ELi8ENS_8SequenceIJLi4ELi64ELi1EEEENSB_IJLi1ELi0ELi2EEEESD_Li2ELi8ELi8ELb0ELi0ENSB_IJLi8ELi32ELi1EEEENSB_IJLi0ELi2ELi1EEEESF_Li1ELi8ELi4ELb0ELi0ELi1ELi1ENSB_IJLi1ELi32ELi1ELi8EEEELi4ELNS_13LoopSchedulerE0ELNS_15PipelineVersionE0EDF16_DF16_EELb1ELi3EEEvNT_8ArgumentE
		.amdhsa_group_segment_fixed_size 0
		.amdhsa_private_segment_fixed_size 0
		.amdhsa_kernarg_size 96
		.amdhsa_user_sgpr_count 15
		.amdhsa_user_sgpr_dispatch_ptr 0
		.amdhsa_user_sgpr_queue_ptr 0
		.amdhsa_user_sgpr_kernarg_segment_ptr 1
		.amdhsa_user_sgpr_dispatch_id 0
		.amdhsa_user_sgpr_private_segment_size 0
		.amdhsa_wavefront_size32 1
		.amdhsa_uses_dynamic_stack 0
		.amdhsa_enable_private_segment 0
		.amdhsa_system_sgpr_workgroup_id_x 1
		.amdhsa_system_sgpr_workgroup_id_y 0
		.amdhsa_system_sgpr_workgroup_id_z 0
		.amdhsa_system_sgpr_workgroup_info 0
		.amdhsa_system_vgpr_workitem_id 0
		.amdhsa_next_free_vgpr 1
		.amdhsa_next_free_sgpr 1
		.amdhsa_reserve_vcc 0
		.amdhsa_float_round_mode_32 0
		.amdhsa_float_round_mode_16_64 0
		.amdhsa_float_denorm_mode_32 3
		.amdhsa_float_denorm_mode_16_64 3
		.amdhsa_dx10_clamp 1
		.amdhsa_ieee_mode 1
		.amdhsa_fp16_overflow 0
		.amdhsa_workgroup_processor_mode 1
		.amdhsa_memory_ordered 1
		.amdhsa_forward_progress 0
		.amdhsa_shared_vgpr_count 0
		.amdhsa_exception_fp_ieee_invalid_op 0
		.amdhsa_exception_fp_denorm_src 0
		.amdhsa_exception_fp_ieee_div_zero 0
		.amdhsa_exception_fp_ieee_overflow 0
		.amdhsa_exception_fp_ieee_underflow 0
		.amdhsa_exception_fp_ieee_inexact 0
		.amdhsa_exception_int_div_zero 0
	.end_amdhsa_kernel
	.section	.text._ZN2ck27kernel_gemm_xdl_cshuffle_v2INS_28GridwiseGemm_xdl_cshuffle_v2INS_13tensor_layout4gemm8RowMajorES4_S4_DF16_DF16_fDF16_DF16_NS_16tensor_operation12element_wise11PassThroughES7_S7_LNS5_6device18GemmSpecializationE0ELNS_25InMemoryDataOperationEnumE0ELi2ELi256ELi256ELi256ELi32ELi8ELi4ELi16ELi16ELi8ELi8ENS_8SequenceIJLi4ELi64ELi1EEEENSB_IJLi1ELi0ELi2EEEESD_Li2ELi8ELi8ELb0ELi0ENSB_IJLi8ELi32ELi1EEEENSB_IJLi0ELi2ELi1EEEESF_Li1ELi8ELi4ELb0ELi0ELi1ELi1ENSB_IJLi1ELi32ELi1ELi8EEEELi4ELNS_13LoopSchedulerE0ELNS_15PipelineVersionE0EDF16_DF16_EELb1ELi3EEEvNT_8ArgumentE,"axG",@progbits,_ZN2ck27kernel_gemm_xdl_cshuffle_v2INS_28GridwiseGemm_xdl_cshuffle_v2INS_13tensor_layout4gemm8RowMajorES4_S4_DF16_DF16_fDF16_DF16_NS_16tensor_operation12element_wise11PassThroughES7_S7_LNS5_6device18GemmSpecializationE0ELNS_25InMemoryDataOperationEnumE0ELi2ELi256ELi256ELi256ELi32ELi8ELi4ELi16ELi16ELi8ELi8ENS_8SequenceIJLi4ELi64ELi1EEEENSB_IJLi1ELi0ELi2EEEESD_Li2ELi8ELi8ELb0ELi0ENSB_IJLi8ELi32ELi1EEEENSB_IJLi0ELi2ELi1EEEESF_Li1ELi8ELi4ELb0ELi0ELi1ELi1ENSB_IJLi1ELi32ELi1ELi8EEEELi4ELNS_13LoopSchedulerE0ELNS_15PipelineVersionE0EDF16_DF16_EELb1ELi3EEEvNT_8ArgumentE,comdat
.Lfunc_end1:
	.size	_ZN2ck27kernel_gemm_xdl_cshuffle_v2INS_28GridwiseGemm_xdl_cshuffle_v2INS_13tensor_layout4gemm8RowMajorES4_S4_DF16_DF16_fDF16_DF16_NS_16tensor_operation12element_wise11PassThroughES7_S7_LNS5_6device18GemmSpecializationE0ELNS_25InMemoryDataOperationEnumE0ELi2ELi256ELi256ELi256ELi32ELi8ELi4ELi16ELi16ELi8ELi8ENS_8SequenceIJLi4ELi64ELi1EEEENSB_IJLi1ELi0ELi2EEEESD_Li2ELi8ELi8ELb0ELi0ENSB_IJLi8ELi32ELi1EEEENSB_IJLi0ELi2ELi1EEEESF_Li1ELi8ELi4ELb0ELi0ELi1ELi1ENSB_IJLi1ELi32ELi1ELi8EEEELi4ELNS_13LoopSchedulerE0ELNS_15PipelineVersionE0EDF16_DF16_EELb1ELi3EEEvNT_8ArgumentE, .Lfunc_end1-_ZN2ck27kernel_gemm_xdl_cshuffle_v2INS_28GridwiseGemm_xdl_cshuffle_v2INS_13tensor_layout4gemm8RowMajorES4_S4_DF16_DF16_fDF16_DF16_NS_16tensor_operation12element_wise11PassThroughES7_S7_LNS5_6device18GemmSpecializationE0ELNS_25InMemoryDataOperationEnumE0ELi2ELi256ELi256ELi256ELi32ELi8ELi4ELi16ELi16ELi8ELi8ENS_8SequenceIJLi4ELi64ELi1EEEENSB_IJLi1ELi0ELi2EEEESD_Li2ELi8ELi8ELb0ELi0ENSB_IJLi8ELi32ELi1EEEENSB_IJLi0ELi2ELi1EEEESF_Li1ELi8ELi4ELb0ELi0ELi1ELi1ENSB_IJLi1ELi32ELi1ELi8EEEELi4ELNS_13LoopSchedulerE0ELNS_15PipelineVersionE0EDF16_DF16_EELb1ELi3EEEvNT_8ArgumentE
                                        ; -- End function
	.section	.AMDGPU.csdata,"",@progbits
; Kernel info:
; codeLenInByte = 4
; NumSgprs: 0
; NumVgprs: 0
; ScratchSize: 0
; MemoryBound: 0
; FloatMode: 240
; IeeeMode: 1
; LDSByteSize: 0 bytes/workgroup (compile time only)
; SGPRBlocks: 0
; VGPRBlocks: 0
; NumSGPRsForWavesPerEU: 1
; NumVGPRsForWavesPerEU: 1
; Occupancy: 16
; WaveLimiterHint : 0
; COMPUTE_PGM_RSRC2:SCRATCH_EN: 0
; COMPUTE_PGM_RSRC2:USER_SGPR: 15
; COMPUTE_PGM_RSRC2:TRAP_HANDLER: 0
; COMPUTE_PGM_RSRC2:TGID_X_EN: 1
; COMPUTE_PGM_RSRC2:TGID_Y_EN: 0
; COMPUTE_PGM_RSRC2:TGID_Z_EN: 0
; COMPUTE_PGM_RSRC2:TIDIG_COMP_CNT: 0
	.section	.text._ZN2ck27kernel_gemm_xdl_cshuffle_v2INS_28GridwiseGemm_xdl_cshuffle_v2INS_13tensor_layout4gemm8RowMajorES4_S4_DF16_DF16_fDF16_DF16_NS_16tensor_operation12element_wise11PassThroughES7_S7_LNS5_6device18GemmSpecializationE0ELNS_25InMemoryDataOperationEnumE0ELi2ELi256ELi256ELi256ELi32ELi8ELi4ELi16ELi16ELi8ELi8ENS_8SequenceIJLi4ELi64ELi1EEEENSB_IJLi1ELi0ELi2EEEESD_Li2ELi8ELi8ELb0ELi0ENSB_IJLi8ELi32ELi1EEEENSB_IJLi0ELi2ELi1EEEESF_Li1ELi8ELi4ELb0ELi0ELi1ELi1ENSB_IJLi1ELi32ELi1ELi8EEEELi4ELNS_13LoopSchedulerE0ELNS_15PipelineVersionE0EDF16_DF16_EELb1ELi2EEEvNT_8ArgumentE,"axG",@progbits,_ZN2ck27kernel_gemm_xdl_cshuffle_v2INS_28GridwiseGemm_xdl_cshuffle_v2INS_13tensor_layout4gemm8RowMajorES4_S4_DF16_DF16_fDF16_DF16_NS_16tensor_operation12element_wise11PassThroughES7_S7_LNS5_6device18GemmSpecializationE0ELNS_25InMemoryDataOperationEnumE0ELi2ELi256ELi256ELi256ELi32ELi8ELi4ELi16ELi16ELi8ELi8ENS_8SequenceIJLi4ELi64ELi1EEEENSB_IJLi1ELi0ELi2EEEESD_Li2ELi8ELi8ELb0ELi0ENSB_IJLi8ELi32ELi1EEEENSB_IJLi0ELi2ELi1EEEESF_Li1ELi8ELi4ELb0ELi0ELi1ELi1ENSB_IJLi1ELi32ELi1ELi8EEEELi4ELNS_13LoopSchedulerE0ELNS_15PipelineVersionE0EDF16_DF16_EELb1ELi2EEEvNT_8ArgumentE,comdat
	.protected	_ZN2ck27kernel_gemm_xdl_cshuffle_v2INS_28GridwiseGemm_xdl_cshuffle_v2INS_13tensor_layout4gemm8RowMajorES4_S4_DF16_DF16_fDF16_DF16_NS_16tensor_operation12element_wise11PassThroughES7_S7_LNS5_6device18GemmSpecializationE0ELNS_25InMemoryDataOperationEnumE0ELi2ELi256ELi256ELi256ELi32ELi8ELi4ELi16ELi16ELi8ELi8ENS_8SequenceIJLi4ELi64ELi1EEEENSB_IJLi1ELi0ELi2EEEESD_Li2ELi8ELi8ELb0ELi0ENSB_IJLi8ELi32ELi1EEEENSB_IJLi0ELi2ELi1EEEESF_Li1ELi8ELi4ELb0ELi0ELi1ELi1ENSB_IJLi1ELi32ELi1ELi8EEEELi4ELNS_13LoopSchedulerE0ELNS_15PipelineVersionE0EDF16_DF16_EELb1ELi2EEEvNT_8ArgumentE ; -- Begin function _ZN2ck27kernel_gemm_xdl_cshuffle_v2INS_28GridwiseGemm_xdl_cshuffle_v2INS_13tensor_layout4gemm8RowMajorES4_S4_DF16_DF16_fDF16_DF16_NS_16tensor_operation12element_wise11PassThroughES7_S7_LNS5_6device18GemmSpecializationE0ELNS_25InMemoryDataOperationEnumE0ELi2ELi256ELi256ELi256ELi32ELi8ELi4ELi16ELi16ELi8ELi8ENS_8SequenceIJLi4ELi64ELi1EEEENSB_IJLi1ELi0ELi2EEEESD_Li2ELi8ELi8ELb0ELi0ENSB_IJLi8ELi32ELi1EEEENSB_IJLi0ELi2ELi1EEEESF_Li1ELi8ELi4ELb0ELi0ELi1ELi1ENSB_IJLi1ELi32ELi1ELi8EEEELi4ELNS_13LoopSchedulerE0ELNS_15PipelineVersionE0EDF16_DF16_EELb1ELi2EEEvNT_8ArgumentE
	.globl	_ZN2ck27kernel_gemm_xdl_cshuffle_v2INS_28GridwiseGemm_xdl_cshuffle_v2INS_13tensor_layout4gemm8RowMajorES4_S4_DF16_DF16_fDF16_DF16_NS_16tensor_operation12element_wise11PassThroughES7_S7_LNS5_6device18GemmSpecializationE0ELNS_25InMemoryDataOperationEnumE0ELi2ELi256ELi256ELi256ELi32ELi8ELi4ELi16ELi16ELi8ELi8ENS_8SequenceIJLi4ELi64ELi1EEEENSB_IJLi1ELi0ELi2EEEESD_Li2ELi8ELi8ELb0ELi0ENSB_IJLi8ELi32ELi1EEEENSB_IJLi0ELi2ELi1EEEESF_Li1ELi8ELi4ELb0ELi0ELi1ELi1ENSB_IJLi1ELi32ELi1ELi8EEEELi4ELNS_13LoopSchedulerE0ELNS_15PipelineVersionE0EDF16_DF16_EELb1ELi2EEEvNT_8ArgumentE
	.p2align	8
	.type	_ZN2ck27kernel_gemm_xdl_cshuffle_v2INS_28GridwiseGemm_xdl_cshuffle_v2INS_13tensor_layout4gemm8RowMajorES4_S4_DF16_DF16_fDF16_DF16_NS_16tensor_operation12element_wise11PassThroughES7_S7_LNS5_6device18GemmSpecializationE0ELNS_25InMemoryDataOperationEnumE0ELi2ELi256ELi256ELi256ELi32ELi8ELi4ELi16ELi16ELi8ELi8ENS_8SequenceIJLi4ELi64ELi1EEEENSB_IJLi1ELi0ELi2EEEESD_Li2ELi8ELi8ELb0ELi0ENSB_IJLi8ELi32ELi1EEEENSB_IJLi0ELi2ELi1EEEESF_Li1ELi8ELi4ELb0ELi0ELi1ELi1ENSB_IJLi1ELi32ELi1ELi8EEEELi4ELNS_13LoopSchedulerE0ELNS_15PipelineVersionE0EDF16_DF16_EELb1ELi2EEEvNT_8ArgumentE,@function
_ZN2ck27kernel_gemm_xdl_cshuffle_v2INS_28GridwiseGemm_xdl_cshuffle_v2INS_13tensor_layout4gemm8RowMajorES4_S4_DF16_DF16_fDF16_DF16_NS_16tensor_operation12element_wise11PassThroughES7_S7_LNS5_6device18GemmSpecializationE0ELNS_25InMemoryDataOperationEnumE0ELi2ELi256ELi256ELi256ELi32ELi8ELi4ELi16ELi16ELi8ELi8ENS_8SequenceIJLi4ELi64ELi1EEEENSB_IJLi1ELi0ELi2EEEESD_Li2ELi8ELi8ELb0ELi0ENSB_IJLi8ELi32ELi1EEEENSB_IJLi0ELi2ELi1EEEESF_Li1ELi8ELi4ELb0ELi0ELi1ELi1ENSB_IJLi1ELi32ELi1ELi8EEEELi4ELNS_13LoopSchedulerE0ELNS_15PipelineVersionE0EDF16_DF16_EELb1ELi2EEEvNT_8ArgumentE: ; @_ZN2ck27kernel_gemm_xdl_cshuffle_v2INS_28GridwiseGemm_xdl_cshuffle_v2INS_13tensor_layout4gemm8RowMajorES4_S4_DF16_DF16_fDF16_DF16_NS_16tensor_operation12element_wise11PassThroughES7_S7_LNS5_6device18GemmSpecializationE0ELNS_25InMemoryDataOperationEnumE0ELi2ELi256ELi256ELi256ELi32ELi8ELi4ELi16ELi16ELi8ELi8ENS_8SequenceIJLi4ELi64ELi1EEEENSB_IJLi1ELi0ELi2EEEESD_Li2ELi8ELi8ELb0ELi0ENSB_IJLi8ELi32ELi1EEEENSB_IJLi0ELi2ELi1EEEESF_Li1ELi8ELi4ELb0ELi0ELi1ELi1ENSB_IJLi1ELi32ELi1ELi8EEEELi4ELNS_13LoopSchedulerE0ELNS_15PipelineVersionE0EDF16_DF16_EELb1ELi2EEEvNT_8ArgumentE
; %bb.0:
	s_endpgm
	.section	.rodata,"a",@progbits
	.p2align	6, 0x0
	.amdhsa_kernel _ZN2ck27kernel_gemm_xdl_cshuffle_v2INS_28GridwiseGemm_xdl_cshuffle_v2INS_13tensor_layout4gemm8RowMajorES4_S4_DF16_DF16_fDF16_DF16_NS_16tensor_operation12element_wise11PassThroughES7_S7_LNS5_6device18GemmSpecializationE0ELNS_25InMemoryDataOperationEnumE0ELi2ELi256ELi256ELi256ELi32ELi8ELi4ELi16ELi16ELi8ELi8ENS_8SequenceIJLi4ELi64ELi1EEEENSB_IJLi1ELi0ELi2EEEESD_Li2ELi8ELi8ELb0ELi0ENSB_IJLi8ELi32ELi1EEEENSB_IJLi0ELi2ELi1EEEESF_Li1ELi8ELi4ELb0ELi0ELi1ELi1ENSB_IJLi1ELi32ELi1ELi8EEEELi4ELNS_13LoopSchedulerE0ELNS_15PipelineVersionE0EDF16_DF16_EELb1ELi2EEEvNT_8ArgumentE
		.amdhsa_group_segment_fixed_size 0
		.amdhsa_private_segment_fixed_size 0
		.amdhsa_kernarg_size 96
		.amdhsa_user_sgpr_count 15
		.amdhsa_user_sgpr_dispatch_ptr 0
		.amdhsa_user_sgpr_queue_ptr 0
		.amdhsa_user_sgpr_kernarg_segment_ptr 1
		.amdhsa_user_sgpr_dispatch_id 0
		.amdhsa_user_sgpr_private_segment_size 0
		.amdhsa_wavefront_size32 1
		.amdhsa_uses_dynamic_stack 0
		.amdhsa_enable_private_segment 0
		.amdhsa_system_sgpr_workgroup_id_x 1
		.amdhsa_system_sgpr_workgroup_id_y 0
		.amdhsa_system_sgpr_workgroup_id_z 0
		.amdhsa_system_sgpr_workgroup_info 0
		.amdhsa_system_vgpr_workitem_id 0
		.amdhsa_next_free_vgpr 1
		.amdhsa_next_free_sgpr 1
		.amdhsa_reserve_vcc 0
		.amdhsa_float_round_mode_32 0
		.amdhsa_float_round_mode_16_64 0
		.amdhsa_float_denorm_mode_32 3
		.amdhsa_float_denorm_mode_16_64 3
		.amdhsa_dx10_clamp 1
		.amdhsa_ieee_mode 1
		.amdhsa_fp16_overflow 0
		.amdhsa_workgroup_processor_mode 1
		.amdhsa_memory_ordered 1
		.amdhsa_forward_progress 0
		.amdhsa_shared_vgpr_count 0
		.amdhsa_exception_fp_ieee_invalid_op 0
		.amdhsa_exception_fp_denorm_src 0
		.amdhsa_exception_fp_ieee_div_zero 0
		.amdhsa_exception_fp_ieee_overflow 0
		.amdhsa_exception_fp_ieee_underflow 0
		.amdhsa_exception_fp_ieee_inexact 0
		.amdhsa_exception_int_div_zero 0
	.end_amdhsa_kernel
	.section	.text._ZN2ck27kernel_gemm_xdl_cshuffle_v2INS_28GridwiseGemm_xdl_cshuffle_v2INS_13tensor_layout4gemm8RowMajorES4_S4_DF16_DF16_fDF16_DF16_NS_16tensor_operation12element_wise11PassThroughES7_S7_LNS5_6device18GemmSpecializationE0ELNS_25InMemoryDataOperationEnumE0ELi2ELi256ELi256ELi256ELi32ELi8ELi4ELi16ELi16ELi8ELi8ENS_8SequenceIJLi4ELi64ELi1EEEENSB_IJLi1ELi0ELi2EEEESD_Li2ELi8ELi8ELb0ELi0ENSB_IJLi8ELi32ELi1EEEENSB_IJLi0ELi2ELi1EEEESF_Li1ELi8ELi4ELb0ELi0ELi1ELi1ENSB_IJLi1ELi32ELi1ELi8EEEELi4ELNS_13LoopSchedulerE0ELNS_15PipelineVersionE0EDF16_DF16_EELb1ELi2EEEvNT_8ArgumentE,"axG",@progbits,_ZN2ck27kernel_gemm_xdl_cshuffle_v2INS_28GridwiseGemm_xdl_cshuffle_v2INS_13tensor_layout4gemm8RowMajorES4_S4_DF16_DF16_fDF16_DF16_NS_16tensor_operation12element_wise11PassThroughES7_S7_LNS5_6device18GemmSpecializationE0ELNS_25InMemoryDataOperationEnumE0ELi2ELi256ELi256ELi256ELi32ELi8ELi4ELi16ELi16ELi8ELi8ENS_8SequenceIJLi4ELi64ELi1EEEENSB_IJLi1ELi0ELi2EEEESD_Li2ELi8ELi8ELb0ELi0ENSB_IJLi8ELi32ELi1EEEENSB_IJLi0ELi2ELi1EEEESF_Li1ELi8ELi4ELb0ELi0ELi1ELi1ENSB_IJLi1ELi32ELi1ELi8EEEELi4ELNS_13LoopSchedulerE0ELNS_15PipelineVersionE0EDF16_DF16_EELb1ELi2EEEvNT_8ArgumentE,comdat
.Lfunc_end2:
	.size	_ZN2ck27kernel_gemm_xdl_cshuffle_v2INS_28GridwiseGemm_xdl_cshuffle_v2INS_13tensor_layout4gemm8RowMajorES4_S4_DF16_DF16_fDF16_DF16_NS_16tensor_operation12element_wise11PassThroughES7_S7_LNS5_6device18GemmSpecializationE0ELNS_25InMemoryDataOperationEnumE0ELi2ELi256ELi256ELi256ELi32ELi8ELi4ELi16ELi16ELi8ELi8ENS_8SequenceIJLi4ELi64ELi1EEEENSB_IJLi1ELi0ELi2EEEESD_Li2ELi8ELi8ELb0ELi0ENSB_IJLi8ELi32ELi1EEEENSB_IJLi0ELi2ELi1EEEESF_Li1ELi8ELi4ELb0ELi0ELi1ELi1ENSB_IJLi1ELi32ELi1ELi8EEEELi4ELNS_13LoopSchedulerE0ELNS_15PipelineVersionE0EDF16_DF16_EELb1ELi2EEEvNT_8ArgumentE, .Lfunc_end2-_ZN2ck27kernel_gemm_xdl_cshuffle_v2INS_28GridwiseGemm_xdl_cshuffle_v2INS_13tensor_layout4gemm8RowMajorES4_S4_DF16_DF16_fDF16_DF16_NS_16tensor_operation12element_wise11PassThroughES7_S7_LNS5_6device18GemmSpecializationE0ELNS_25InMemoryDataOperationEnumE0ELi2ELi256ELi256ELi256ELi32ELi8ELi4ELi16ELi16ELi8ELi8ENS_8SequenceIJLi4ELi64ELi1EEEENSB_IJLi1ELi0ELi2EEEESD_Li2ELi8ELi8ELb0ELi0ENSB_IJLi8ELi32ELi1EEEENSB_IJLi0ELi2ELi1EEEESF_Li1ELi8ELi4ELb0ELi0ELi1ELi1ENSB_IJLi1ELi32ELi1ELi8EEEELi4ELNS_13LoopSchedulerE0ELNS_15PipelineVersionE0EDF16_DF16_EELb1ELi2EEEvNT_8ArgumentE
                                        ; -- End function
	.section	.AMDGPU.csdata,"",@progbits
; Kernel info:
; codeLenInByte = 4
; NumSgprs: 0
; NumVgprs: 0
; ScratchSize: 0
; MemoryBound: 0
; FloatMode: 240
; IeeeMode: 1
; LDSByteSize: 0 bytes/workgroup (compile time only)
; SGPRBlocks: 0
; VGPRBlocks: 0
; NumSGPRsForWavesPerEU: 1
; NumVGPRsForWavesPerEU: 1
; Occupancy: 16
; WaveLimiterHint : 0
; COMPUTE_PGM_RSRC2:SCRATCH_EN: 0
; COMPUTE_PGM_RSRC2:USER_SGPR: 15
; COMPUTE_PGM_RSRC2:TRAP_HANDLER: 0
; COMPUTE_PGM_RSRC2:TGID_X_EN: 1
; COMPUTE_PGM_RSRC2:TGID_Y_EN: 0
; COMPUTE_PGM_RSRC2:TGID_Z_EN: 0
; COMPUTE_PGM_RSRC2:TIDIG_COMP_CNT: 0
	.section	.text._ZN2ck27kernel_gemm_xdl_cshuffle_v2INS_28GridwiseGemm_xdl_cshuffle_v2INS_13tensor_layout4gemm8RowMajorES4_S4_DF16_DF16_fDF16_DF16_NS_16tensor_operation12element_wise11PassThroughES7_S7_LNS5_6device18GemmSpecializationE0ELNS_25InMemoryDataOperationEnumE0ELi2ELi256ELi256ELi256ELi32ELi8ELi4ELi16ELi16ELi8ELi4ENS_8SequenceIJLi4ELi64ELi1EEEENSB_IJLi1ELi0ELi2EEEESD_Li2ELi8ELi8ELb0ELi0ENSB_IJLi8ELi32ELi1EEEENSB_IJLi0ELi2ELi1EEEESF_Li1ELi8ELi4ELb0ELi0ELi1ELi1ENSB_IJLi1ELi32ELi1ELi8EEEELi4ELNS_13LoopSchedulerE0ELNS_15PipelineVersionE0EDF16_DF16_EELb1ELi3EEEvNT_8ArgumentE,"axG",@progbits,_ZN2ck27kernel_gemm_xdl_cshuffle_v2INS_28GridwiseGemm_xdl_cshuffle_v2INS_13tensor_layout4gemm8RowMajorES4_S4_DF16_DF16_fDF16_DF16_NS_16tensor_operation12element_wise11PassThroughES7_S7_LNS5_6device18GemmSpecializationE0ELNS_25InMemoryDataOperationEnumE0ELi2ELi256ELi256ELi256ELi32ELi8ELi4ELi16ELi16ELi8ELi4ENS_8SequenceIJLi4ELi64ELi1EEEENSB_IJLi1ELi0ELi2EEEESD_Li2ELi8ELi8ELb0ELi0ENSB_IJLi8ELi32ELi1EEEENSB_IJLi0ELi2ELi1EEEESF_Li1ELi8ELi4ELb0ELi0ELi1ELi1ENSB_IJLi1ELi32ELi1ELi8EEEELi4ELNS_13LoopSchedulerE0ELNS_15PipelineVersionE0EDF16_DF16_EELb1ELi3EEEvNT_8ArgumentE,comdat
	.protected	_ZN2ck27kernel_gemm_xdl_cshuffle_v2INS_28GridwiseGemm_xdl_cshuffle_v2INS_13tensor_layout4gemm8RowMajorES4_S4_DF16_DF16_fDF16_DF16_NS_16tensor_operation12element_wise11PassThroughES7_S7_LNS5_6device18GemmSpecializationE0ELNS_25InMemoryDataOperationEnumE0ELi2ELi256ELi256ELi256ELi32ELi8ELi4ELi16ELi16ELi8ELi4ENS_8SequenceIJLi4ELi64ELi1EEEENSB_IJLi1ELi0ELi2EEEESD_Li2ELi8ELi8ELb0ELi0ENSB_IJLi8ELi32ELi1EEEENSB_IJLi0ELi2ELi1EEEESF_Li1ELi8ELi4ELb0ELi0ELi1ELi1ENSB_IJLi1ELi32ELi1ELi8EEEELi4ELNS_13LoopSchedulerE0ELNS_15PipelineVersionE0EDF16_DF16_EELb1ELi3EEEvNT_8ArgumentE ; -- Begin function _ZN2ck27kernel_gemm_xdl_cshuffle_v2INS_28GridwiseGemm_xdl_cshuffle_v2INS_13tensor_layout4gemm8RowMajorES4_S4_DF16_DF16_fDF16_DF16_NS_16tensor_operation12element_wise11PassThroughES7_S7_LNS5_6device18GemmSpecializationE0ELNS_25InMemoryDataOperationEnumE0ELi2ELi256ELi256ELi256ELi32ELi8ELi4ELi16ELi16ELi8ELi4ENS_8SequenceIJLi4ELi64ELi1EEEENSB_IJLi1ELi0ELi2EEEESD_Li2ELi8ELi8ELb0ELi0ENSB_IJLi8ELi32ELi1EEEENSB_IJLi0ELi2ELi1EEEESF_Li1ELi8ELi4ELb0ELi0ELi1ELi1ENSB_IJLi1ELi32ELi1ELi8EEEELi4ELNS_13LoopSchedulerE0ELNS_15PipelineVersionE0EDF16_DF16_EELb1ELi3EEEvNT_8ArgumentE
	.globl	_ZN2ck27kernel_gemm_xdl_cshuffle_v2INS_28GridwiseGemm_xdl_cshuffle_v2INS_13tensor_layout4gemm8RowMajorES4_S4_DF16_DF16_fDF16_DF16_NS_16tensor_operation12element_wise11PassThroughES7_S7_LNS5_6device18GemmSpecializationE0ELNS_25InMemoryDataOperationEnumE0ELi2ELi256ELi256ELi256ELi32ELi8ELi4ELi16ELi16ELi8ELi4ENS_8SequenceIJLi4ELi64ELi1EEEENSB_IJLi1ELi0ELi2EEEESD_Li2ELi8ELi8ELb0ELi0ENSB_IJLi8ELi32ELi1EEEENSB_IJLi0ELi2ELi1EEEESF_Li1ELi8ELi4ELb0ELi0ELi1ELi1ENSB_IJLi1ELi32ELi1ELi8EEEELi4ELNS_13LoopSchedulerE0ELNS_15PipelineVersionE0EDF16_DF16_EELb1ELi3EEEvNT_8ArgumentE
	.p2align	8
	.type	_ZN2ck27kernel_gemm_xdl_cshuffle_v2INS_28GridwiseGemm_xdl_cshuffle_v2INS_13tensor_layout4gemm8RowMajorES4_S4_DF16_DF16_fDF16_DF16_NS_16tensor_operation12element_wise11PassThroughES7_S7_LNS5_6device18GemmSpecializationE0ELNS_25InMemoryDataOperationEnumE0ELi2ELi256ELi256ELi256ELi32ELi8ELi4ELi16ELi16ELi8ELi4ENS_8SequenceIJLi4ELi64ELi1EEEENSB_IJLi1ELi0ELi2EEEESD_Li2ELi8ELi8ELb0ELi0ENSB_IJLi8ELi32ELi1EEEENSB_IJLi0ELi2ELi1EEEESF_Li1ELi8ELi4ELb0ELi0ELi1ELi1ENSB_IJLi1ELi32ELi1ELi8EEEELi4ELNS_13LoopSchedulerE0ELNS_15PipelineVersionE0EDF16_DF16_EELb1ELi3EEEvNT_8ArgumentE,@function
_ZN2ck27kernel_gemm_xdl_cshuffle_v2INS_28GridwiseGemm_xdl_cshuffle_v2INS_13tensor_layout4gemm8RowMajorES4_S4_DF16_DF16_fDF16_DF16_NS_16tensor_operation12element_wise11PassThroughES7_S7_LNS5_6device18GemmSpecializationE0ELNS_25InMemoryDataOperationEnumE0ELi2ELi256ELi256ELi256ELi32ELi8ELi4ELi16ELi16ELi8ELi4ENS_8SequenceIJLi4ELi64ELi1EEEENSB_IJLi1ELi0ELi2EEEESD_Li2ELi8ELi8ELb0ELi0ENSB_IJLi8ELi32ELi1EEEENSB_IJLi0ELi2ELi1EEEESF_Li1ELi8ELi4ELb0ELi0ELi1ELi1ENSB_IJLi1ELi32ELi1ELi8EEEELi4ELNS_13LoopSchedulerE0ELNS_15PipelineVersionE0EDF16_DF16_EELb1ELi3EEEvNT_8ArgumentE: ; @_ZN2ck27kernel_gemm_xdl_cshuffle_v2INS_28GridwiseGemm_xdl_cshuffle_v2INS_13tensor_layout4gemm8RowMajorES4_S4_DF16_DF16_fDF16_DF16_NS_16tensor_operation12element_wise11PassThroughES7_S7_LNS5_6device18GemmSpecializationE0ELNS_25InMemoryDataOperationEnumE0ELi2ELi256ELi256ELi256ELi32ELi8ELi4ELi16ELi16ELi8ELi4ENS_8SequenceIJLi4ELi64ELi1EEEENSB_IJLi1ELi0ELi2EEEESD_Li2ELi8ELi8ELb0ELi0ENSB_IJLi8ELi32ELi1EEEENSB_IJLi0ELi2ELi1EEEESF_Li1ELi8ELi4ELb0ELi0ELi1ELi1ENSB_IJLi1ELi32ELi1ELi8EEEELi4ELNS_13LoopSchedulerE0ELNS_15PipelineVersionE0EDF16_DF16_EELb1ELi3EEEvNT_8ArgumentE
; %bb.0:
	s_clause 0x4
	s_load_b128 s[4:7], s[0:1], 0x10
	s_load_b64 s[20:21], s[0:1], 0x20
	s_load_b32 s8, s[0:1], 0x34
	s_load_b128 s[16:19], s[0:1], 0x48
	s_load_b64 s[0:1], s[0:1], 0x58
	v_mov_b32_e32 v79, v0
	s_mov_b32 s23, 0
	s_waitcnt lgkmcnt(0)
	s_add_i32 s2, s4, -1
	s_delay_alu instid0(SALU_CYCLE_1)
	s_cmpk_lt_u32 s2, 0x100
	s_cbranch_scc1 .LBB3_4
; %bb.1:
	s_add_i32 s2, s5, -1
	s_mov_b32 s3, 0
	s_cmpk_lt_u32 s2, 0x100
	s_cbranch_scc1 .LBB3_8
; %bb.2:
	s_add_i32 s2, s4, 0xff
	s_add_i32 s3, s5, 0xff
	s_ashr_i32 s9, s2, 31
	s_ashr_i32 s10, s3, 31
	s_lshr_b32 s9, s9, 24
	s_lshr_b32 s10, s10, 24
	s_add_i32 s2, s2, s9
	s_add_i32 s9, s3, s10
	s_ashr_i32 s3, s2, 8
	s_ashr_i32 s2, s9, 8
	;; [unrolled: 1-line block ×3, first 2 shown]
	s_mul_i32 s9, s2, s3
	s_delay_alu instid0(SALU_CYCLE_1) | instskip(NEXT) | instid1(SALU_CYCLE_1)
	s_add_i32 s10, s9, 7
	s_ashr_i32 s11, s10, 31
	s_delay_alu instid0(SALU_CYCLE_1) | instskip(NEXT) | instid1(SALU_CYCLE_1)
	s_lshr_b32 s11, s11, 29
	s_add_i32 s14, s10, s11
	s_lshr_b32 s10, s12, 29
	s_and_b32 s11, s14, -8
	s_add_i32 s13, s15, s10
	s_sub_i32 s10, s9, s11
	s_and_b32 s9, s13, -8
	s_add_i32 s10, s10, 8
	s_sub_i32 s11, s15, s9
	s_ashr_i32 s12, s14, 3
	s_cmp_gt_i32 s11, s10
	s_cbranch_scc1 .LBB3_5
; %bb.3:
	s_mul_i32 s9, s12, s11
	s_ashr_i32 s13, s13, 3
	s_cbranch_execz .LBB3_6
	s_branch .LBB3_7
.LBB3_4:
	s_mov_b32 s2, 0
	s_branch .LBB3_9
.LBB3_5:
                                        ; implicit-def: $sgpr9
	s_ashr_i32 s13, s13, 3
.LBB3_6:
	s_add_i32 s9, s12, -1
	s_delay_alu instid0(SALU_CYCLE_1) | instskip(NEXT) | instid1(SALU_CYCLE_1)
	s_mul_i32 s9, s9, s11
	s_add_i32 s9, s10, s9
.LBB3_7:
	s_abs_i32 s10, s2
	s_add_i32 s9, s9, s13
	v_cvt_f32_u32_e32 v0, s10
	s_sub_i32 s12, 0, s10
	s_abs_i32 s13, s9
	s_delay_alu instid0(VALU_DEP_1) | instskip(SKIP_2) | instid1(VALU_DEP_1)
	v_rcp_iflag_f32_e32 v0, v0
	s_waitcnt_depctr 0xfff
	v_mul_f32_e32 v0, 0x4f7ffffe, v0
	v_cvt_u32_f32_e32 v0, v0
	s_delay_alu instid0(VALU_DEP_1) | instskip(NEXT) | instid1(VALU_DEP_1)
	v_readfirstlane_b32 s11, v0
	s_mul_i32 s12, s12, s11
	s_delay_alu instid0(SALU_CYCLE_1) | instskip(NEXT) | instid1(SALU_CYCLE_1)
	s_mul_hi_u32 s12, s11, s12
	s_add_i32 s11, s11, s12
	s_xor_b32 s12, s9, s2
	s_mul_hi_u32 s11, s13, s11
	s_ashr_i32 s12, s12, 31
	s_mul_i32 s14, s11, s10
	s_delay_alu instid0(SALU_CYCLE_1)
	s_sub_i32 s13, s13, s14
	s_add_i32 s14, s11, 1
	s_sub_i32 s15, s13, s10
	s_cmp_ge_u32 s13, s10
	s_cselect_b32 s11, s14, s11
	s_cselect_b32 s13, s15, s13
	s_add_i32 s14, s11, 1
	s_cmp_ge_u32 s13, s10
	s_cselect_b32 s10, s14, s11
	s_lshr_b32 s11, s3, 30
	s_xor_b32 s10, s10, s12
	s_add_i32 s11, s3, s11
	s_sub_i32 s10, s10, s12
	s_and_b32 s11, s11, -4
	s_mul_i32 s12, s10, s2
	s_sub_i32 s3, s3, s11
	s_sub_i32 s9, s9, s12
	s_cmp_ge_i32 s10, s11
	s_cselect_b32 s11, s3, 4
	s_ashr_i32 s12, s10, 31
	s_abs_i32 s3, s11
	s_lshr_b32 s12, s12, 30
	v_cvt_f32_u32_e32 v0, s3
	s_add_i32 s12, s10, s12
	s_sub_i32 s14, 0, s3
	s_and_b32 s12, s12, -4
	s_delay_alu instid0(SALU_CYCLE_1) | instskip(SKIP_2) | instid1(SALU_CYCLE_1)
	s_sub_i32 s12, s10, s12
	v_rcp_iflag_f32_e32 v0, v0
	s_mul_i32 s2, s12, s2
	s_add_i32 s2, s2, s9
	s_waitcnt_depctr 0xfff
	v_mul_f32_e32 v0, 0x4f7ffffe, v0
	s_delay_alu instid0(VALU_DEP_1) | instskip(NEXT) | instid1(VALU_DEP_1)
	v_cvt_u32_f32_e32 v0, v0
	v_readfirstlane_b32 s13, v0
	s_delay_alu instid0(VALU_DEP_1) | instskip(NEXT) | instid1(SALU_CYCLE_1)
	s_mul_i32 s14, s14, s13
	s_mul_hi_u32 s9, s13, s14
	s_abs_i32 s14, s2
	s_add_i32 s13, s13, s9
	s_delay_alu instid0(SALU_CYCLE_1)
	s_mul_hi_u32 s9, s14, s13
	s_xor_b32 s13, s2, s11
	s_mul_i32 s15, s9, s3
	s_ashr_i32 s13, s13, 31
	s_sub_i32 s14, s14, s15
	s_add_i32 s15, s9, 1
	s_sub_i32 s22, s14, s3
	s_cmp_ge_u32 s14, s3
	s_cselect_b32 s9, s15, s9
	s_cselect_b32 s14, s22, s14
	s_add_i32 s15, s9, 1
	s_cmp_ge_u32 s14, s3
	s_cselect_b32 s3, s15, s9
	s_delay_alu instid0(SALU_CYCLE_1) | instskip(NEXT) | instid1(SALU_CYCLE_1)
	s_xor_b32 s3, s3, s13
	s_sub_i32 s3, s3, s13
	s_delay_alu instid0(SALU_CYCLE_1) | instskip(NEXT) | instid1(SALU_CYCLE_1)
	s_mul_i32 s9, s3, s11
	s_sub_i32 s2, s2, s9
	s_delay_alu instid0(SALU_CYCLE_1) | instskip(NEXT) | instid1(SALU_CYCLE_1)
	s_add_i32 s2, s2, s10
	s_sub_i32 s15, s2, s12
.LBB3_8:
	s_delay_alu instid0(SALU_CYCLE_1)
	s_mov_b32 s2, s15
	s_mov_b32 s15, s3
.LBB3_9:
	v_lshrrev_b32_e32 v37, 5, v79
	s_add_u32 s22, 0, 0
	v_and_b32_e32 v12, 0xfc, v79
	s_addc_u32 s4, s4, -1
	s_add_u32 s3, 0, 0
	v_lshlrev_b32_e32 v15, 2, v37
	s_addc_u32 s9, s6, 0x7fffffff
	s_lshl_b32 s3, s2, 8
	v_lshlrev_b32_e32 v2, 3, v79
	v_add_nc_u32_e32 v13, s3, v12
	v_mul_lo_u32 v0, v15, s20
	v_bfe_u32 v1, v79, 1, 3
	s_lshl_b32 s3, s15, 8
	v_and_b32_e32 v38, 0xf8, v2
	v_mul_lo_u32 v14, v13, s7
	s_ashr_i32 s11, s8, 31
	v_and_b32_e32 v16, 3, v79
	v_and_b32_e32 v3, 15, v79
	v_add3_u32 v25, v0, v38, s3
	v_lshrrev_b32_e32 v0, 1, v79
	v_and_or_b32 v39, v2, 8, v1
	v_and_b32_e32 v40, 0x80, v79
	s_lshr_b32 s11, s11, 30
	s_mul_i32 s10, s4, s7
	s_add_i32 s8, s8, s11
	s_mul_i32 s12, s9, s20
	v_lshl_add_u32 v4, v16, 3, v14
	s_clause 0x2
	scratch_store_b32 off, v2, off offset:1776
	scratch_store_b32 off, v0, off offset:1780
	;; [unrolled: 1-line block ×3, first 2 shown]
	v_and_or_b32 v41, v0, 48, v3
	s_ashr_i32 s24, s8, 2
	; sched_barrier mask(0x00000000)
	v_add_nc_u32_e32 v29, s20, v25
	v_add_nc_u32_e32 v8, s7, v4
	s_add_i32 s6, s6, s10
	v_lshlrev_b32_e32 v0, 1, v4
	v_lshlrev_b32_e32 v21, 1, v25
	v_add_nc_u32_e32 v33, s20, v29
	v_add_nc_u32_e32 v17, s7, v8
	v_lshlrev_b32_e32 v25, 1, v29
	s_lshl_b32 s10, s6, 1
	s_mov_b32 s11, 0x31004000
	v_add_nc_u32_e32 v43, s20, v33
	v_dual_mov_b32 v245, 0 :: v_dual_add_nc_u32 v42, s7, v17
	v_lshlrev_b32_e32 v29, 1, v33
	v_lshlrev_b32_e32 v4, 1, v8
	s_delay_alu instid0(VALU_DEP_4)
	v_lshlrev_b32_e32 v33, 1, v43
	s_add_i32 s6, s5, s12
	v_lshlrev_b32_e32 v8, 1, v17
	s_mov_b32 s8, s16
	s_mov_b32 s9, s17
	v_lshlrev_b32_e32 v17, 1, v42
	s_lshl_b32 s14, s6, 1
	s_mov_b32 s12, s18
	s_mov_b32 s13, s19
	;; [unrolled: 1-line block ×3, first 2 shown]
	s_clause 0x1
	buffer_load_b128 v[0:3], v0, s[8:11], 0 offen
	buffer_load_b128 v[4:7], v4, s[8:11], 0 offen
	s_clause 0x3
	buffer_load_b128 v[21:24], v21, s[12:15], 0 offen
	buffer_load_b128 v[25:28], v25, s[12:15], 0 offen
	;; [unrolled: 1-line block ×4, first 2 shown]
	s_clause 0x1
	buffer_load_b128 v[8:11], v8, s[8:11], 0 offen
	buffer_load_b128 v[17:20], v17, s[8:11], 0 offen
	v_lshlrev_b32_e32 v12, 4, v12
	s_mul_i32 s6, s7, -3
	s_mul_i32 s16, s20, 29
	s_add_i32 s6, s6, 32
	v_add_lshl_u32 v113, v14, s7, 1
	v_lshl_or_b32 v80, v16, 12, v12
	v_lshlrev_b32_e32 v12, 11, v37
	s_lshl_b32 s17, s3, 1
	v_mov_b32_e32 v246, v245
	v_mov_b32_e32 v247, v245
	;; [unrolled: 1-line block ×3, first 2 shown]
	v_lshl_or_b32 v109, v38, 3, v12
	v_mov_b32_e32 v249, v245
	v_mov_b32_e32 v250, v245
	;; [unrolled: 1-line block ×4, first 2 shown]
	v_or_b32_e32 v12, 0x4000, v109
	v_mov_b32_e32 v220, v245
	v_mov_b32_e32 v221, v245
	;; [unrolled: 1-line block ×24, first 2 shown]
	s_waitcnt vmcnt(7)
	ds_store_b128 v80, v[0:3]
	s_waitcnt vmcnt(6)
	ds_store_b128 v80, v[4:7] offset:16
	s_waitcnt vmcnt(1)
	ds_store_b128 v80, v[8:11] offset:32
	;; [unrolled: 2-line block ×3, first 2 shown]
	v_perm_b32 v0, v25, v21, 0x5040100
	v_perm_b32 v2, v25, v21, 0x7060302
	;; [unrolled: 1-line block ×16, first 2 shown]
	scratch_store_b32 off, v12, off offset:1788 ; 4-byte Folded Spill
	ds_store_b128 v109, v[0:3] offset:16384
	ds_store_b128 v109, v[4:7] offset:16400
	;; [unrolled: 1-line block ×4, first 2 shown]
	v_lshlrev_b32_e32 v0, 1, v40
	v_lshlrev_b32_e32 v5, 3, v41
	s_waitcnt lgkmcnt(0)
	s_waitcnt_vscnt null, 0x0
	s_barrier
	v_mov_b32_e32 v7, v245
	v_lshl_or_b32 v6, v39, 4, v0
	v_or_b32_e32 v0, 0x4000, v5
	ds_load_b128 v[164:167], v6
	ds_load_b128 v[168:171], v6 offset:4096
	scratch_store_b32 off, v0, off offset:1744 ; 4-byte Folded Spill
	ds_load_2addr_stride64_b64 v[180:183], v5 offset0:32 offset1:33
	ds_load_2addr_stride64_b64 v[66:69], v5 offset0:36 offset1:37
	;; [unrolled: 1-line block ×8, first 2 shown]
	ds_load_b128 v[17:20], v6 offset:512
	ds_load_b128 v[21:24], v6 offset:4608
	s_waitcnt lgkmcnt(0)
	s_clause 0x1
	scratch_store_b128 off, v[17:20], off offset:768
	scratch_store_b128 off, v[21:24], off offset:784
	ds_load_b128 v[17:20], v6 offset:1024
	ds_load_b128 v[21:24], v6 offset:5120
	s_waitcnt lgkmcnt(0)
	s_clause 0x1
	scratch_store_b128 off, v[17:20], off offset:1312
	scratch_store_b128 off, v[21:24], off offset:1328
	;; [unrolled: 6-line block ×3, first 2 shown]
	ds_load_b128 v[212:215], v6 offset:2048
	ds_load_b128 v[216:219], v6 offset:6144
	;; [unrolled: 1-line block ×4, first 2 shown]
	s_waitcnt lgkmcnt(0)
	s_clause 0x1
	scratch_store_b128 off, v[17:20], off offset:1248
	scratch_store_b128 off, v[21:24], off offset:1264
	ds_load_b128 v[17:20], v6 offset:3072
	ds_load_b128 v[21:24], v6 offset:7168
	s_waitcnt lgkmcnt(0)
	s_clause 0x1
	scratch_store_b128 off, v[17:20], off offset:1216
	scratch_store_b128 off, v[21:24], off offset:1232
	ds_load_b128 v[17:20], v6 offset:3584
	ds_load_b128 v[21:24], v6 offset:7680
	;; [unrolled: 6-line block ×3, first 2 shown]
	s_waitcnt lgkmcnt(0)
	s_clause 0x1
	scratch_store_b128 off, v[17:20], off offset:1152
	scratch_store_b128 off, v[21:24], off offset:1168
	v_dual_mov_b32 v187, v2 :: v_dual_add_nc_u32 v46, s6, v42
	v_add_nc_u32_e32 v62, s16, v43
	ds_load_2addr_stride64_b64 v[137:140], v5 offset0:48 offset1:49
	ds_load_2addr_stride64_b64 v[93:96], v5 offset0:52 offset1:53
	;; [unrolled: 1-line block ×8, first 2 shown]
	ds_load_b128 v[70:73], v6 offset:8704
	ds_load_b128 v[74:77], v6 offset:12800
	s_waitcnt lgkmcnt(0)
	s_clause 0x1
	scratch_store_b128 off, v[70:73], off offset:1120
	scratch_store_b128 off, v[74:77], off offset:1136
	ds_load_b128 v[70:73], v6 offset:9216
	ds_load_b128 v[74:77], v6 offset:13312
	s_waitcnt lgkmcnt(0)
	s_clause 0x1
	scratch_store_b128 off, v[70:73], off offset:1088
	scratch_store_b128 off, v[74:77], off offset:1104
	;; [unrolled: 6-line block ×7, first 2 shown]
	v_add_nc_u32_e32 v70, s20, v62
	v_add_nc_u32_e32 v37, s7, v46
	v_mov_b32_e32 v163, v42
	v_lshlrev_b32_e32 v21, 1, v46
	v_lshlrev_b32_e32 v54, 1, v62
	v_add_nc_u32_e32 v74, s20, v70
	v_add_nc_u32_e32 v41, s7, v37
	v_lshlrev_b32_e32 v29, 1, v37
	v_dual_mov_b32 v145, v164 :: v_dual_lshlrev_b32 v62, 1, v70
	s_delay_alu instid0(VALU_DEP_4) | instskip(NEXT) | instid1(VALU_DEP_4)
	v_add_nc_u32_e32 v78, s20, v74
	v_lshlrev_b32_e32 v37, 1, v41
	v_add_nc_u32_e32 v41, s7, v41
	v_lshlrev_b32_e32 v70, 1, v74
	v_mov_b32_e32 v146, v165
	v_dual_mov_b32 v147, v166 :: v_dual_lshlrev_b32 v74, 1, v78
	v_dual_mov_b32 v148, v167 :: v_dual_mov_b32 v149, v168
	v_dual_mov_b32 v150, v169 :: v_dual_mov_b32 v151, v170
	v_mov_b32_e32 v152, v171
	s_clause 0x1
	buffer_load_b128 v[21:24], v21, s[8:11], 0 offen
	buffer_load_b128 v[29:32], v29, s[8:11], 0 offen
	s_clause 0x2
	buffer_load_b128 v[54:57], v54, s[12:15], 0 offen
	buffer_load_b128 v[62:65], v62, s[12:15], 0 offen
	;; [unrolled: 1-line block ×3, first 2 shown]
	v_mov_b32_e32 v164, v43
	v_dual_mov_b32 v165, v97 :: v_dual_lshlrev_b32 v46, 1, v41
	buffer_load_b128 v[70:73], v70, s[12:15], 0 offen
	buffer_load_b128 v[37:40], v37, s[8:11], 0 offen
	v_or_b32_e32 v0, 0x8000, v80
	buffer_load_b128 v[46:49], v46, s[8:11], 0 offen
	v_dual_mov_b32 v12, v140 :: v_dual_add_nc_u32 v41, s6, v41
	v_lshlrev_b32_e32 v114, 1, v14
	scratch_store_b32 off, v0, off offset:1748 ; 4-byte Folded Spill
	v_or_b32_e32 v0, 0x8000, v109
	v_dual_mov_b32 v11, v139 :: v_dual_add_nc_u32 v78, s16, v78
	v_dual_mov_b32 v17, v60 :: v_dual_mov_b32 v166, v98
	v_dual_mov_b32 v185, v106 :: v_dual_mov_b32 v186, v1
	v_mov_b32_e32 v1, v245
	v_mov_b32_e32 v2, v245
	v_mov_b32_e32 v144, v59
	v_mov_b32_e32 v18, v61
	s_add_i32 s6, s24, -3
	s_lshl_b32 s16, s20, 7
	s_waitcnt vmcnt(7)
	ds_store_b128 v80, v[21:24] offset:32768
	s_waitcnt vmcnt(6)
	ds_store_b128 v80, v[29:32] offset:32784
	;; [unrolled: 2-line block ×3, first 2 shown]
	s_clause 0x1
	scratch_store_b32 off, v80, off offset:1732
	scratch_store_b32 off, v0, off offset:1752
	v_perm_b32 v21, v62, v54, 0x5040100
	v_perm_b32 v23, v62, v54, 0x7060302
	;; [unrolled: 1-line block ×4, first 2 shown]
	v_or_b32_e32 v0, 0xc000, v109
	v_perm_b32 v29, v63, v55, 0x5040100
	v_perm_b32 v31, v63, v55, 0x7060302
	;; [unrolled: 1-line block ×8, first 2 shown]
	s_waitcnt vmcnt(0)
	ds_store_b128 v80, v[46:49] offset:32816
	scratch_store_b32 off, v0, off offset:1756 ; 4-byte Folded Spill
	ds_store_b128 v109, v[21:24] offset:49152
	ds_store_b128 v109, v[29:32] offset:49168
	;; [unrolled: 1-line block ×3, first 2 shown]
	v_dual_mov_b32 v14, v96 :: v_dual_lshlrev_b32 v21, 1, v41
	scratch_store_b32 off, v109, off offset:1736 ; 4-byte Folded Spill
	v_dual_mov_b32 v139, v93 :: v_dual_mov_b32 v140, v94
	buffer_load_b128 v[228:231], v21, s[8:11], 0 offen
	v_add_nc_u32_e32 v21, s7, v41
	v_mov_b32_e32 v141, v89
	v_or_b32_e32 v0, 0x8000, v6
	v_perm_b32 v46, v65, v57, 0x5040100
	v_perm_b32 v48, v65, v57, 0x7060302
	v_lshlrev_b32_e32 v22, 1, v21
	v_add_nc_u32_e32 v21, s7, v21
	v_perm_b32 v47, v77, v73, 0x5040100
	v_perm_b32 v49, v77, v73, 0x7060302
	v_mov_b32_e32 v56, v4
	buffer_load_b128 v[29:32], v22, s[8:11], 0 offen
	v_lshlrev_b32_e32 v22, 1, v21
	v_add_lshl_u32 v21, v21, s7, 1
	ds_store_b128 v109, v[46:49] offset:49200
	v_mov_b32_e32 v55, v3
	v_mov_b32_e32 v3, v245
	v_dual_mov_b32 v4, v245 :: v_dual_mov_b32 v49, v182
	v_mov_b32_e32 v182, v66
	v_dual_mov_b32 v40, v51 :: v_dual_mov_b32 v73, v161
	;; [unrolled: 2-line block ×3, first 2 shown]
	v_mov_b32_e32 v76, v104
	v_mov_b32_e32 v77, v44
	v_dual_mov_b32 v161, v101 :: v_dual_mov_b32 v162, v102
	v_mov_b32_e32 v37, v81
	v_dual_mov_b32 v39, v50 :: v_dual_mov_b32 v50, v183
	;; [unrolled: 2-line block ×3, first 2 shown]
	v_mov_b32_e32 v65, v245
	v_mov_b32_e32 v66, v245
	v_mov_b32_e32 v67, v245
	v_mov_b32_e32 v68, v245
	v_mov_b32_e32 v70, v245
	v_mov_b32_e32 v71, v245
	v_mov_b32_e32 v72, v245
	v_mov_b32_e32 v142, v90
	scratch_store_b32 off, v0, off offset:1800 ; 4-byte Folded Spill
	v_or_b32_e32 v0, 0x8000, v5
	v_dual_mov_b32 v26, v87 :: v_dual_mov_b32 v143, v58
	v_dual_mov_b32 v28, v83 :: v_dual_mov_b32 v25, v36
	scratch_store_b32 off, v6, off offset:1768 ; 4-byte Folded Spill
	v_mov_b32_e32 v6, v245
	v_mov_b32_e32 v54, v108
	v_dual_mov_b32 v27, v88 :: v_dual_mov_b32 v36, v86
	v_mov_b32_e32 v38, v82
	s_waitcnt vmcnt(0)
	scratch_store_b128 off, v[29:32], off offset:1440 ; 16-byte Folded Spill
	buffer_load_b128 v[29:32], v22, s[8:11], 0 offen
	s_waitcnt vmcnt(0)
	scratch_store_b128 off, v[29:32], off offset:1408 ; 16-byte Folded Spill
	buffer_load_b128 v[21:24], v21, s[8:11], 0 offen
	s_waitcnt vmcnt(0)
	scratch_store_b128 off, v[21:24], off offset:1344 ; 16-byte Folded Spill
	v_lshlrev_b32_e32 v21, 1, v78
	buffer_load_b128 v[21:24], v21, s[12:15], 0 offen
	s_waitcnt vmcnt(0)
	scratch_store_b128 off, v[21:24], off offset:1472 ; 16-byte Folded Spill
	v_dual_mov_b32 v24, v35 :: v_dual_add_nc_u32 v21, s20, v78
	v_mov_b32_e32 v78, v45
	s_delay_alu instid0(VALU_DEP_2)
	v_dual_mov_b32 v35, v85 :: v_dual_lshlrev_b32 v22, 1, v21
	v_add_nc_u32_e32 v21, s20, v21
	buffer_load_b128 v[29:32], v22, s[12:15], 0 offen
	v_lshlrev_b32_e32 v22, 1, v21
	v_add_lshl_u32 v21, v21, s20, 1
	s_waitcnt vmcnt(0)
	scratch_store_b128 off, v[29:32], off offset:1280 ; 16-byte Folded Spill
	buffer_load_b128 v[29:32], v22, s[12:15], 0 offen
	s_waitcnt vmcnt(0)
	scratch_store_b128 off, v[29:32], off offset:1376 ; 16-byte Folded Spill
	buffer_load_b128 v[208:211], v21, s[12:15], 0 offen
	s_clause 0x1
	scratch_store_b32 off, v0, off offset:1796
	scratch_store_b32 off, v5, off offset:1740
	v_or_b32_e32 v0, 0xc000, v5
	v_dual_mov_b32 v30, v52 :: v_dual_and_b32 v21, 31, v79
	s_clause 0x1
	scratch_store_b32 off, v0, off offset:1792
	scratch_store_b32 off, v79, off offset:1772
	v_lshlrev_b32_e32 v0, 4, v21
	v_or_b32_e32 v21, 0x83, v15
	v_mov_b32_e32 v29, v84
	v_mov_b32_e32 v5, v245
	;; [unrolled: 1-line block ×3, first 2 shown]
	scratch_store_b32 off, v0, off offset:1760 ; 4-byte Folded Spill
	v_mul_lo_u32 v21, s20, v21
	v_dual_mov_b32 v79, v99 :: v_dual_mov_b32 v52, v69
	v_mov_b32_e32 v53, v107
	v_mov_b32_e32 v69, v245
	s_delay_alu instid0(VALU_DEP_4) | instskip(SKIP_1) | instid1(VALU_DEP_1)
	v_lshl_add_u32 v8, v21, 1, s17
	v_or_b32_e32 v21, 0x82, v15
	v_mul_lo_u32 v21, s20, v21
	s_delay_alu instid0(VALU_DEP_1) | instskip(SKIP_1) | instid1(VALU_DEP_1)
	v_lshl_add_u32 v154, v21, 1, s17
	v_or_b32_e32 v21, 0x81, v15
	v_mul_lo_u32 v21, s20, v21
	s_delay_alu instid0(VALU_DEP_1) | instskip(SKIP_1) | instid1(VALU_DEP_1)
	v_lshl_add_u32 v153, v21, 1, s17
	v_or_b32_e32 v21, 0x80, v15
	v_mul_lo_u32 v21, s20, v21
	s_delay_alu instid0(VALU_DEP_1) | instskip(SKIP_3) | instid1(VALU_DEP_1)
	v_lshl_add_u32 v0, v21, 1, s17
	v_or_b32_e32 v21, 0x63, v15
	scratch_store_b32 off, v0, off offset:1504 ; 4-byte Folded Spill
	v_mul_lo_u32 v21, s20, v21
	v_lshl_add_u32 v204, v21, 1, s17
	v_or_b32_e32 v21, 0x62, v15
	s_delay_alu instid0(VALU_DEP_1) | instskip(NEXT) | instid1(VALU_DEP_1)
	v_mul_lo_u32 v21, s20, v21
	v_lshl_add_u32 v0, v21, 1, s17
	v_or_b32_e32 v21, 0x61, v15
	v_or_b32_e32 v15, 0x60, v15
	scratch_store_b32 off, v0, off offset:1536 ; 4-byte Folded Spill
	v_lshlrev_b32_e32 v0, 4, v16
	v_mul_lo_u32 v15, s20, v15
	v_mul_lo_u32 v21, s20, v21
	v_mov_b32_e32 v16, v92
	scratch_store_b32 off, v0, off offset:1764 ; 4-byte Folded Spill
	v_mov_b32_e32 v0, v245
	s_clause 0x1f
	scratch_store_b128 off, v[0:3], off offset:128
	scratch_store_b128 off, v[4:7], off offset:144
	;; [unrolled: 1-line block ×6, first 2 shown]
	scratch_store_b128 off, v[0:3], off
	scratch_store_b128 off, v[4:7], off offset:16
	scratch_store_b128 off, v[0:3], off offset:320
	;; [unrolled: 1-line block ×25, first 2 shown]
	s_clause 0x7
	scratch_store_b128 off, v[0:3], off offset:384
	scratch_store_b128 off, v[4:7], off offset:400
	;; [unrolled: 1-line block ×8, first 2 shown]
	v_lshl_add_u32 v10, v15, 1, s17
	v_add_nc_u32_e32 v15, 3, v13
	v_add_nc_u32_e32 v13, 2, v13
	v_lshl_add_u32 v9, v21, 1, s17
	s_clause 0x1
	scratch_store_b128 off, v[0:3], off offset:416
	scratch_store_b128 off, v[4:7], off offset:432
	v_mul_lo_u32 v15, s7, v15
	v_mul_lo_u32 v13, s7, v13
	s_clause 0x5
	scratch_store_b128 off, v[0:3], off offset:480
	scratch_store_b128 off, v[4:7], off offset:496
	;; [unrolled: 1-line block ×6, first 2 shown]
	v_lshl_add_u32 v116, v15, 1, 0x100
	v_dual_mov_b32 v13, v95 :: v_dual_lshlrev_b32 v158, 1, v13
	v_mov_b32_e32 v15, v91
	s_clause 0x5
	scratch_store_b128 off, v[0:3], off offset:960
	scratch_store_b128 off, v[4:7], off offset:976
	;; [unrolled: 1-line block ×6, first 2 shown]
	s_clause 0x1
	scratch_load_b32 v155, off, off offset:1768
	scratch_load_b32 v254, off, off offset:1760
.LBB3_10:                               ; =>This Inner Loop Header: Depth=1
	v_dual_mov_b32 v103, v10 :: v_dual_mov_b32 v32, v9
	s_clause 0x9
	scratch_store_b32 off, v114, off offset:1632
	scratch_store_b32 off, v113, off offset:1628
	;; [unrolled: 1-line block ×10, first 2 shown]
	s_waitcnt vmcnt(0) lgkmcnt(0)
	s_waitcnt_vscnt null, 0x0
	s_barrier
	s_clause 0x1
	scratch_load_b128 v[57:60], off, off offset:544
	scratch_load_b128 v[61:64], off, off offset:560
	v_or_b32_e32 v253, 0x8000, v155
	v_dual_mov_b32 v85, v145 :: v_dual_mov_b32 v86, v146
	v_dual_mov_b32 v87, v147 :: v_dual_mov_b32 v88, v148
	;; [unrolled: 1-line block ×4, first 2 shown]
	s_clause 0x9
	scratch_load_b32 v154, off, off offset:1740
	scratch_load_b128 v[188:191], off, off offset:800
	scratch_load_b128 v[192:195], off, off offset:816
	;; [unrolled: 1-line block ×8, first 2 shown]
	scratch_load_b32 v255, off, off offset:1536
	s_waitcnt vmcnt(10)
	v_wmma_f32_16x16x16_f16 v[57:64], v[212:219], v[33:40], v[57:64]
	ds_load_b128 v[41:44], v253
	scratch_load_b128 v[0:3], off, off offset:192 ; 16-byte Folded Reload
	ds_load_b128 v[45:48], v253 offset:4096
	; sched_group_barrier mask(0x00000008) size(1) SyncID(0)
	; sched_group_barrier mask(0x00000100) size(1) SyncID(0)
	s_waitcnt vmcnt(10)
	v_or_b32_e32 v105, 0x8000, v154
	v_or_b32_e32 v236, 0xc000, v154
	s_waitcnt lgkmcnt(0)
	s_clause 0x1
	scratch_store_b128 off, v[41:44], off offset:1684
	scratch_store_b128 off, v[45:48], off offset:1700
	s_clause 0x1
	scratch_load_b128 v[41:44], off, off offset:512
	scratch_load_b128 v[45:48], off, off offset:528
	s_waitcnt vmcnt(0)
	v_wmma_f32_16x16x16_f16 v[41:48], v[212:219], v[24:31], v[41:48]
	scratch_load_b128 v[4:7], off, off offset:208 ; 16-byte Folded Reload
	s_waitcnt vmcnt(0)
	v_wmma_f32_16x16x16_f16 v[0:7], v[85:92], v[180:187], v[0:7]
	s_clause 0x1
	scratch_store_b128 off, v[0:3], off offset:192
	scratch_store_b128 off, v[4:7], off offset:208
	s_clause 0x1
	scratch_load_b128 v[0:3], off, off offset:160
	scratch_load_b128 v[4:7], off, off offset:176
	s_waitcnt vmcnt(0)
	v_wmma_f32_16x16x16_f16 v[0:7], v[85:92], v[49:56], v[0:7]
	scratch_load_b32 v93, off, off offset:1732 ; 4-byte Folded Reload
	s_clause 0x1
	scratch_store_b128 off, v[0:3], off offset:160
	scratch_store_b128 off, v[4:7], off offset:176
	s_waitcnt vmcnt(0)
	ds_store_b128 v93, v[228:231]
	s_clause 0x1
	scratch_load_b128 v[228:231], off, off offset:384
	scratch_load_b128 v[232:235], off, off offset:400
	s_waitcnt vmcnt(0)
	v_wmma_f32_16x16x16_f16 v[228:235], v[212:219], v[49:56], v[228:235]
	s_clause 0x1
	scratch_load_b128 v[0:3], off, off offset:352
	scratch_load_b128 v[4:7], off, off offset:368
	s_waitcnt vmcnt(0)
	v_wmma_f32_16x16x16_f16 v[0:7], v[85:92], v[33:40], v[0:7]
	scratch_load_b32 v94, off, off offset:1764 ; 4-byte Folded Reload
	s_clause 0x1
	scratch_store_b128 off, v[0:3], off offset:352
	scratch_store_b128 off, v[4:7], off offset:368
	s_waitcnt vmcnt(0)
	v_add_nc_u32_e32 v153, v94, v116
	s_clause 0x1
	scratch_load_b128 v[116:119], off, off offset:1248
	scratch_load_b128 v[120:123], off, off offset:1264
	v_add_nc_u32_e32 v0, v94, v114
	v_add_nc_u32_e32 v8, v94, v113
	;; [unrolled: 1-line block ×3, first 2 shown]
	scratch_load_b128 v[112:115], off, off offset:1472 ; 16-byte Folded Reload
	v_perm_b32 v94, v208, v132, 0x5040100
	scratch_store_b32 off, v0, off offset:1652 ; 4-byte Folded Spill
	s_waitcnt vmcnt(1)
	v_wmma_f32_16x16x16_f16 v[172:179], v[116:123], v[24:31], v[172:179]
	buffer_load_b128 v[0:3], v0, s[8:11], 0 offen offset:192
	s_waitcnt vmcnt(0)
	scratch_store_b128 off, v[0:3], off offset:1668 ; 16-byte Folded Spill
	s_clause 0x1
	scratch_load_b128 v[0:3], off, off offset:320
	scratch_load_b128 v[4:7], off, off offset:336
	s_waitcnt vmcnt(0)
	v_wmma_f32_16x16x16_f16 v[0:7], v[85:92], v[24:31], v[0:7]
	s_clause 0x3
	scratch_load_b128 v[95:98], off, off offset:768
	scratch_load_b128 v[99:102], off, off offset:784
	;; [unrolled: 1-line block ×4, first 2 shown]
	s_clause 0x1
	scratch_store_b128 off, v[0:3], off offset:320
	scratch_store_b128 off, v[4:7], off offset:336
	s_clause 0x2
	scratch_load_b128 v[0:3], off, off
	scratch_load_b128 v[4:7], off, off offset:16
	scratch_load_b128 v[85:88], off, off offset:624
	s_waitcnt vmcnt(1)
	v_wmma_f32_16x16x16_f16 v[0:7], v[95:102], v[180:187], v[0:7]
	s_clause 0x1
	scratch_store_b128 off, v[0:3], off
	scratch_store_b128 off, v[4:7], off offset:16
	s_clause 0x1
	scratch_load_b128 v[0:3], off, off offset:32
	scratch_load_b128 v[4:7], off, off offset:48
	s_waitcnt vmcnt(0)
	v_wmma_f32_16x16x16_f16 v[0:7], v[95:102], v[49:56], v[0:7]
	s_clause 0x1
	scratch_store_b128 off, v[0:3], off offset:32
	scratch_store_b128 off, v[4:7], off offset:48
	s_clause 0x1
	scratch_load_b128 v[0:3], off, off offset:64
	scratch_load_b128 v[4:7], off, off offset:80
	s_waitcnt vmcnt(0)
	v_wmma_f32_16x16x16_f16 v[0:7], v[95:102], v[33:40], v[0:7]
	s_clause 0x1
	scratch_store_b128 off, v[0:3], off offset:64
	scratch_store_b128 off, v[4:7], off offset:80
	s_clause 0x1
	scratch_load_b128 v[0:3], off, off offset:128
	scratch_load_b128 v[4:7], off, off offset:144
	s_waitcnt vmcnt(0)
	v_wmma_f32_16x16x16_f16 v[0:7], v[95:102], v[24:31], v[0:7]
	s_clause 0x1
	scratch_load_b128 v[95:98], off, off offset:1312
	scratch_load_b128 v[99:102], off, off offset:1328
	s_clause 0x1
	scratch_store_b128 off, v[0:3], off offset:128
	scratch_store_b128 off, v[4:7], off offset:144
	buffer_load_b128 v[0:3], v8, s[8:11], 0 offen offset:192
	s_waitcnt vmcnt(0)
	scratch_store_b128 off, v[0:3], off offset:1440 ; 16-byte Folded Spill
	s_clause 0x1
	scratch_load_b128 v[0:3], off, off offset:96
	scratch_load_b128 v[4:7], off, off offset:112
	s_waitcnt vmcnt(0)
	v_wmma_f32_16x16x16_f16 v[0:7], v[95:102], v[49:56], v[0:7]
	s_clause 0x1
	scratch_store_b128 off, v[0:3], off offset:96
	scratch_store_b128 off, v[4:7], off offset:112
	s_clause 0x1
	scratch_load_b128 v[0:3], off, off offset:288
	scratch_load_b128 v[4:7], off, off offset:304
	s_waitcnt vmcnt(0)
	v_wmma_f32_16x16x16_f16 v[0:7], v[95:102], v[33:40], v[0:7]
	s_clause 0x1
	scratch_store_b128 off, v[0:3], off offset:288
	scratch_store_b128 off, v[4:7], off offset:304
	ds_load_2addr_stride64_b64 v[0:3], v105 offset0:32 offset1:33
	s_waitcnt lgkmcnt(0)
	scratch_store_b128 off, v[0:3], off offset:1716 ; 16-byte Folded Spill
	s_clause 0x1
	scratch_load_b128 v[0:3], off, off offset:256
	scratch_load_b128 v[4:7], off, off offset:272
	s_waitcnt vmcnt(0)
	v_wmma_f32_16x16x16_f16 v[0:7], v[95:102], v[24:31], v[0:7]
	v_wmma_f32_16x16x16_f16 v[245:252], v[95:102], v[180:187], v[245:252]
	scratch_load_b128 v[95:98], off, off offset:736 ; 16-byte Folded Reload
	scratch_store_b128 off, v[172:175], off offset:736 ; 16-byte Folded Spill
	scratch_load_b128 v[99:102], off, off offset:752 ; 16-byte Folded Reload
	scratch_store_b128 off, v[176:179], off offset:752 ; 16-byte Folded Spill
	s_clause 0x1
	scratch_load_b128 v[172:175], off, off offset:1216
	scratch_load_b128 v[176:179], off, off offset:1232
	s_clause 0x1
	scratch_store_b128 off, v[0:3], off offset:256
	scratch_store_b128 off, v[4:7], off offset:272
	s_clause 0x1
	scratch_load_b128 v[0:3], off, off offset:576
	scratch_load_b128 v[4:7], off, off offset:592
	s_clause 0x1
	scratch_store_b128 off, v[245:248], off offset:768
	scratch_store_b128 off, v[249:252], off offset:784
	s_clause 0x1
	scratch_load_b128 v[245:248], off, off offset:640
	scratch_load_b128 v[249:252], off, off offset:656
	s_waitcnt vmcnt(4)
	v_wmma_f32_16x16x16_f16 v[188:195], v[172:179], v[24:31], v[188:195]
	ds_store_b128 v93, v[89:92] offset:16
	scratch_load_b128 v[89:92], off, off offset:1408 ; 16-byte Folded Reload
	s_waitcnt vmcnt(0)
	ds_store_b128 v93, v[89:92] offset:32
	v_wmma_f32_16x16x16_f16 v[145:152], v[95:102], v[24:31], v[145:152]
	v_wmma_f32_16x16x16_f16 v[0:7], v[95:102], v[180:187], v[0:7]
	;; [unrolled: 1-line block ×3, first 2 shown]
	s_clause 0x1
	scratch_store_b128 off, v[0:3], off offset:576
	scratch_store_b128 off, v[4:7], off offset:592
	buffer_load_b128 v[0:3], v171, s[8:11], 0 offen offset:192
	s_waitcnt vmcnt(0)
	scratch_store_b128 off, v[0:3], off offset:1408 ; 16-byte Folded Spill
	s_clause 0x1
	scratch_load_b128 v[0:3], off, off offset:672
	scratch_load_b128 v[4:7], off, off offset:688
	s_waitcnt vmcnt(0)
	v_wmma_f32_16x16x16_f16 v[0:7], v[95:102], v[33:40], v[0:7]
	s_clause 0x1
	scratch_load_b128 v[95:98], off, off offset:1344
	scratch_load_b32 v101, off, off offset:1736
	v_perm_b32 v99, v109, v113, 0x7060302
	v_perm_b32 v100, v209, v133, 0x7060302
	s_clause 0x1
	scratch_store_b128 off, v[0:3], off offset:672
	scratch_store_b128 off, v[4:7], off offset:688
	s_waitcnt vmcnt(1)
	ds_store_b128 v93, v[95:98] offset:48
	v_subrev_nc_u32_e32 v93, 64, v153
	v_perm_b32 v95, v108, v112, 0x7060302
	v_perm_b32 v96, v208, v132, 0x7060302
	;; [unrolled: 1-line block ×4, first 2 shown]
	buffer_load_b128 v[0:3], v93, s[8:11], 0 offen
	v_perm_b32 v93, v108, v112, 0x5040100
	s_waitcnt vmcnt(1)
	v_or_b32_e32 v109, 0x4000, v101
	s_clause 0x1
	scratch_load_b128 v[125:128], off, off offset:448
	scratch_load_b128 v[129:132], off, off offset:464
	ds_store_b128 v109, v[97:100] offset:16
	ds_store_b128 v101, v[93:96] offset:16384
	v_wmma_f32_16x16x16_f16 v[245:252], v[212:219], v[180:187], v[245:252]
	v_add_nc_u32_e32 v93, v254, v103
	v_dual_mov_b32 v212, v220 :: v_dual_add_nc_u32 v97, v254, v32
	v_dual_mov_b32 v213, v221 :: v_dual_mov_b32 v214, v222
	v_dual_mov_b32 v215, v223 :: v_dual_mov_b32 v216, v224
	;; [unrolled: 1-line block ×3, first 2 shown]
	v_mov_b32_e32 v219, v227
	s_clause 0x1
	scratch_load_b128 v[220:223], off, off offset:1184
	scratch_load_b128 v[224:227], off, off offset:1200
	s_waitcnt vmcnt(4)
	scratch_store_b128 off, v[0:3], off offset:1312 ; 16-byte Folded Spill
	ds_load_2addr_stride64_b64 v[0:3], v236 offset0:8 offset1:9
	s_waitcnt lgkmcnt(0)
	scratch_store_b128 off, v[0:3], off offset:1344 ; 16-byte Folded Spill
	buffer_load_b128 v[19:22], v93, s[12:15], 0 offen
	s_clause 0x1
	scratch_load_b128 v[0:3], off, off offset:416
	scratch_load_b128 v[4:7], off, off offset:432
	s_waitcnt vmcnt(2)
	scratch_store_b128 off, v[19:22], off offset:1636 ; 16-byte Folded Spill
	buffer_load_b128 v[19:22], v97, s[12:15], 0 offen
	s_clause 0x1
	scratch_load_b128 v[97:100], off, off offset:960
	scratch_load_b128 v[101:104], off, off offset:976
	s_waitcnt vmcnt(2)
	scratch_store_b128 off, v[19:22], off offset:1216 ; 16-byte Folded Spill
	s_waitcnt vmcnt(0)
	v_wmma_f32_16x16x16_f16 v[97:104], v[220:227], v[49:56], v[97:104]
	v_wmma_f32_16x16x16_f16 v[125:132], v[116:123], v[180:187], v[125:132]
	;; [unrolled: 1-line block ×4, first 2 shown]
	s_clause 0x1
	scratch_load_b128 v[117:120], off, off offset:480
	scratch_load_b128 v[121:124], off, off offset:496
	s_waitcnt vmcnt(0)
	v_wmma_f32_16x16x16_f16 v[117:124], v[172:179], v[49:56], v[117:124]
	s_clause 0x1
	scratch_load_b128 v[49:52], off, off offset:896
	scratch_load_b128 v[53:56], off, off offset:912
	s_waitcnt vmcnt(0)
	v_wmma_f32_16x16x16_f16 v[49:56], v[220:227], v[33:40], v[49:56]
	v_wmma_f32_16x16x16_f16 v[196:203], v[172:179], v[33:40], v[196:203]
	s_clause 0x1
	scratch_load_b128 v[32:35], off, off offset:224
	scratch_load_b128 v[36:39], off, off offset:240
	s_waitcnt vmcnt(0)
	v_wmma_f32_16x16x16_f16 v[32:39], v[220:227], v[24:31], v[32:39]
	v_perm_b32 v25, v110, v114, 0x5040100
	v_perm_b32 v27, v110, v114, 0x7060302
	;; [unrolled: 1-line block ×4, first 2 shown]
	s_clause 0x1
	scratch_store_b128 off, v[32:35], off offset:224
	scratch_store_b128 off, v[36:39], off offset:240
	v_perm_b32 v26, v210, v134, 0x5040100
	v_perm_b32 v28, v210, v134, 0x7060302
	;; [unrolled: 1-line block ×4, first 2 shown]
	s_clause 0x1
	scratch_load_b128 v[33:36], off, off offset:1152
	scratch_load_b128 v[37:40], off, off offset:1168
	ds_load_b128 v[208:211], v253 offset:2560
	ds_load_b128 v[133:136], v253 offset:7168
	ds_store_b128 v109, v[29:32] offset:48
	ds_store_b128 v109, v[25:28] offset:32
	s_clause 0x1
	scratch_load_b128 v[19:22], off, off offset:192
	scratch_load_b128 v[23:26], off, off offset:208
	s_waitcnt vmcnt(0)
	v_wmma_f32_16x16x16_f16 v[19:26], v[33:40], v[137:144], v[19:26]
	s_clause 0x1
	scratch_store_b128 off, v[19:22], off offset:192
	scratch_store_b128 off, v[23:26], off offset:208
	v_add_nc_u32_e32 v25, v254, v255
	buffer_load_b128 v[113:116], v25, s[12:15], 0 offen
	s_clause 0x1
	scratch_load_b128 v[19:22], off, off offset:160
	scratch_load_b128 v[23:26], off, off offset:176
	s_waitcnt vmcnt(0)
	v_wmma_f32_16x16x16_f16 v[19:26], v[33:40], v[11:18], v[19:26]
	s_clause 0x1
	scratch_store_b128 off, v[19:22], off offset:160
	scratch_store_b128 off, v[23:26], off offset:176
	s_clause 0x1
	scratch_load_b128 v[19:22], off, off offset:352
	scratch_load_b128 v[23:26], off, off offset:368
	s_waitcnt vmcnt(0)
	v_wmma_f32_16x16x16_f16 v[19:26], v[33:40], v[159:166], v[19:26]
	s_clause 0x1
	scratch_store_b128 off, v[19:22], off offset:352
	scratch_store_b128 off, v[23:26], off offset:368
	s_clause 0x1
	scratch_load_b128 v[19:22], off, off offset:320
	scratch_load_b128 v[23:26], off, off offset:336
	s_waitcnt vmcnt(0)
	v_wmma_f32_16x16x16_f16 v[19:26], v[33:40], v[73:80], v[19:26]
	s_clause 0x1
	scratch_load_b128 v[33:36], off, off offset:1120
	scratch_load_b128 v[37:40], off, off offset:1136
	s_clause 0x1
	scratch_store_b128 off, v[19:22], off offset:320
	scratch_store_b128 off, v[23:26], off offset:336
	s_clause 0x1
	scratch_load_b128 v[19:22], off, off
	scratch_load_b128 v[23:26], off, off offset:16
	s_waitcnt vmcnt(0)
	v_wmma_f32_16x16x16_f16 v[19:26], v[33:40], v[137:144], v[19:26]
	s_clause 0x1
	scratch_store_b128 off, v[19:22], off
	scratch_store_b128 off, v[23:26], off offset:16
	s_clause 0x1
	scratch_load_b128 v[19:22], off, off offset:32
	scratch_load_b128 v[23:26], off, off offset:48
	s_waitcnt vmcnt(0)
	v_wmma_f32_16x16x16_f16 v[19:26], v[33:40], v[11:18], v[19:26]
	v_wmma_f32_16x16x16_f16 v[237:244], v[220:227], v[180:187], v[237:244]
	s_clause 0x1
	scratch_store_b128 off, v[19:22], off offset:32
	scratch_store_b128 off, v[23:26], off offset:48
	v_add_nc_u32_e32 v25, v254, v204
	ds_load_b128 v[204:207], v253 offset:6144
	buffer_load_b128 v[224:227], v25, s[12:15], 0 offen
	s_clause 0x1
	scratch_load_b128 v[19:22], off, off offset:64
	scratch_load_b128 v[23:26], off, off offset:80
	s_waitcnt vmcnt(0)
	v_wmma_f32_16x16x16_f16 v[19:26], v[33:40], v[159:166], v[19:26]
	s_clause 0x1
	scratch_store_b128 off, v[19:22], off offset:64
	scratch_store_b128 off, v[23:26], off offset:80
	s_clause 0x1
	scratch_load_b128 v[19:22], off, off offset:128
	scratch_load_b128 v[23:26], off, off offset:144
	s_waitcnt vmcnt(0)
	v_wmma_f32_16x16x16_f16 v[19:26], v[33:40], v[73:80], v[19:26]
	s_clause 0x1
	scratch_load_b128 v[33:36], off, off offset:1088
	scratch_load_b128 v[37:40], off, off offset:1104
	s_clause 0x1
	scratch_store_b128 off, v[19:22], off offset:128
	scratch_store_b128 off, v[23:26], off offset:144
	s_clause 0x1
	scratch_load_b128 v[25:28], off, off offset:768
	scratch_load_b128 v[29:32], off, off offset:784
	s_waitcnt vmcnt(0)
	v_wmma_f32_16x16x16_f16 v[25:32], v[33:40], v[137:144], v[25:32]
	s_clause 0x1
	scratch_store_b128 off, v[25:28], off offset:768
	scratch_store_b128 off, v[29:32], off offset:784
	s_clause 0x1
	scratch_load_b128 v[19:22], off, off offset:96
	scratch_load_b128 v[23:26], off, off offset:112
	s_waitcnt vmcnt(0)
	v_wmma_f32_16x16x16_f16 v[19:26], v[33:40], v[11:18], v[19:26]
	;; [unrolled: 8-line block ×4, first 2 shown]
	s_clause 0x1
	scratch_load_b128 v[33:36], off, off offset:576
	scratch_load_b128 v[37:40], off, off offset:592
	s_clause 0x1
	scratch_store_b128 off, v[19:22], off offset:256
	scratch_store_b128 off, v[23:26], off offset:272
	s_clause 0x1
	scratch_load_b128 v[25:28], off, off offset:1056
	scratch_load_b128 v[29:32], off, off offset:1072
	ds_load_2addr_stride64_b64 v[21:24], v236 offset0:28 offset1:29
	s_waitcnt vmcnt(0)
	v_nop
	v_wmma_f32_16x16x16_f16 v[145:152], v[25:32], v[73:80], v[145:152]
	v_wmma_f32_16x16x16_f16 v[81:88], v[25:32], v[11:18], v[81:88]
	;; [unrolled: 1-line block ×3, first 2 shown]
	s_clause 0x3
	scratch_store_b128 off, v[145:148], off offset:704
	scratch_store_b128 off, v[149:152], off offset:720
	scratch_store_b128 off, v[33:36], off offset:576
	scratch_store_b128 off, v[37:40], off offset:592
	s_clause 0x1
	scratch_load_b128 v[33:36], off, off offset:672
	scratch_load_b128 v[37:40], off, off offset:688
	ds_load_b128 v[145:148], v253 offset:8192
	ds_load_b128 v[149:152], v253 offset:12288
	s_clause 0x1
	scratch_store_b128 off, v[81:84], off offset:608
	scratch_store_b128 off, v[85:88], off offset:624
	s_waitcnt vmcnt(0)
	v_wmma_f32_16x16x16_f16 v[33:40], v[25:32], v[159:166], v[33:40]
	s_clause 0x1
	scratch_load_b128 v[25:28], off, off offset:864
	scratch_load_b128 v[29:32], off, off offset:880
	s_clause 0x1
	scratch_store_b128 off, v[33:36], off offset:672
	scratch_store_b128 off, v[37:40], off offset:688
	s_clause 0x1
	scratch_load_b128 v[33:36], off, off offset:1024
	scratch_load_b128 v[37:40], off, off offset:1040
	s_waitcnt vmcnt(2)
	v_wmma_f32_16x16x16_f16 v[41:48], v[25:32], v[73:80], v[41:48]
	v_wmma_f32_16x16x16_f16 v[245:252], v[25:32], v[137:144], v[245:252]
	v_wmma_f32_16x16x16_f16 v[228:235], v[25:32], v[11:18], v[228:235]
	v_wmma_f32_16x16x16_f16 v[57:64], v[25:32], v[159:166], v[57:64]
	s_clause 0x1
	scratch_load_b128 v[25:28], off, off offset:736
	scratch_load_b128 v[29:32], off, off offset:752
	s_clause 0x1
	scratch_store_b128 off, v[245:248], off offset:640
	scratch_store_b128 off, v[249:252], off offset:656
	v_dual_mov_b32 v252, v104 :: v_dual_mov_b32 v251, v103
	v_dual_mov_b32 v250, v102 :: v_dual_mov_b32 v249, v101
	;; [unrolled: 1-line block ×4, first 2 shown]
	s_clause 0x1
	scratch_store_b128 off, v[57:60], off offset:544
	scratch_store_b128 off, v[41:44], off offset:512
	ds_load_b128 v[97:100], v253 offset:8704
	ds_load_b128 v[101:104], v253 offset:12800
	s_clause 0x1
	scratch_store_b128 off, v[61:64], off offset:560
	scratch_store_b128 off, v[45:48], off offset:528
	ds_load_b128 v[57:60], v253 offset:9728
	ds_load_b128 v[61:64], v253 offset:13824
	ds_load_2addr_stride64_b64 v[45:48], v236 offset0:24 offset1:25
	ds_load_2addr_stride64_b64 v[41:44], v236 offset0:26 offset1:27
	s_clause 0x1
	scratch_store_b128 off, v[228:231], off offset:384
	scratch_store_b128 off, v[232:235], off offset:400
	s_waitcnt vmcnt(0)
	v_wmma_f32_16x16x16_f16 v[25:32], v[33:40], v[73:80], v[25:32]
	s_clause 0x1
	scratch_store_b128 off, v[25:28], off offset:736
	scratch_store_b128 off, v[29:32], off offset:752
	s_clause 0x1
	scratch_load_b128 v[25:28], off, off offset:928
	scratch_load_b128 v[29:32], off, off offset:944
	s_waitcnt vmcnt(0)
	v_nop
	v_wmma_f32_16x16x16_f16 v[196:203], v[25:32], v[159:166], v[196:203]
	v_wmma_f32_16x16x16_f16 v[188:195], v[25:32], v[73:80], v[188:195]
	;; [unrolled: 1-line block ×3, first 2 shown]
	ds_load_b128 v[184:187], v253 offset:1024
	; sched_group_barrier mask(0x00000008) size(1) SyncID(0)
	; sched_group_barrier mask(0x00000200) size(1) SyncID(0)
	;; [unrolled: 1-line block ×4, first 2 shown]
	s_clause 0x1
	scratch_store_b128 off, v[196:199], off offset:832
	scratch_store_b128 off, v[188:191], off offset:800
	v_wmma_f32_16x16x16_f16 v[65:72], v[25:32], v[137:144], v[65:72]
	v_wmma_f32_16x16x16_f16 v[117:124], v[25:32], v[11:18], v[117:124]
	s_clause 0x1
	scratch_load_b128 v[25:28], off, off offset:992
	scratch_load_b128 v[29:32], off, off offset:1008
	v_wmma_f32_16x16x16_f16 v[0:7], v[33:40], v[159:166], v[0:7]
	v_wmma_f32_16x16x16_f16 v[125:132], v[33:40], v[137:144], v[125:132]
	;; [unrolled: 1-line block ×3, first 2 shown]
	scratch_store_b128 off, v[117:120], off offset:480 ; 16-byte Folded Spill
	ds_load_2addr_stride64_b64 v[167:170], v236 offset0:10 offset1:11
	s_clause 0x1
	scratch_store_b128 off, v[0:3], off offset:416
	scratch_store_b128 off, v[4:7], off offset:432
	ds_load_b128 v[0:3], v253 offset:10752
	ds_load_b128 v[4:7], v253 offset:14848
	s_clause 0x3
	scratch_store_b128 off, v[125:128], off offset:448
	scratch_store_b128 off, v[212:215], off offset:864
	;; [unrolled: 1-line block ×4, first 2 shown]
	ds_load_b128 v[180:183], v253 offset:4608
	ds_load_b128 v[176:179], v253 offset:512
	ds_load_2addr_stride64_b64 v[172:175], v105 offset0:34 offset1:35
	ds_load_2addr_stride64_b64 v[105:108], v236 offset0:6 offset1:7
	;; [unrolled: 1-line block ×5, first 2 shown]
	s_clause 0x1
	scratch_store_b128 off, v[121:124], off offset:496
	scratch_store_b128 off, v[192:195], off offset:816
	ds_load_b128 v[188:191], v253 offset:5120
	ds_load_b128 v[212:215], v253 offset:6656
	;; [unrolled: 1-line block ×5, first 2 shown]
	s_waitcnt lgkmcnt(12)
	s_clause 0x1
	scratch_store_b128 off, v[0:3], off offset:1024
	scratch_store_b128 off, v[4:7], off offset:1040
	ds_load_b128 v[0:3], v253 offset:11264
	ds_load_b128 v[4:7], v253 offset:15360
	scratch_store_b128 off, v[200:203], off offset:848 ; 16-byte Folded Spill
	ds_load_b128 v[192:195], v253 offset:1536
	ds_load_b128 v[196:199], v253 offset:5632
	;; [unrolled: 1-line block ×3, first 2 shown]
	; sched_group_barrier mask(0x00000008) size(2) SyncID(0)
	; sched_group_barrier mask(0x00000008) size(1) SyncID(0)
	;; [unrolled: 1-line block ×78, first 2 shown]
	s_waitcnt lgkmcnt(3)
	s_clause 0x1
	scratch_store_b128 off, v[0:3], off offset:960
	scratch_store_b128 off, v[4:7], off offset:976
	ds_load_b128 v[0:3], v253 offset:11776
	ds_load_b128 v[4:7], v253 offset:15872
	s_waitcnt lgkmcnt(0)
	s_clause 0x1
	scratch_store_b128 off, v[0:3], off offset:992
	scratch_store_b128 off, v[4:7], off offset:1008
	s_waitcnt vmcnt(0)
	v_wmma_f32_16x16x16_f16 v[245:252], v[25:32], v[11:18], v[245:252]
	s_clause 0x1
	scratch_load_b128 v[9:12], off, off offset:224
	scratch_load_b128 v[13:16], off, off offset:240
	v_wmma_f32_16x16x16_f16 v[49:56], v[25:32], v[159:166], v[49:56]
	v_wmma_f32_16x16x16_f16 v[237:244], v[25:32], v[137:144], v[237:244]
	ds_load_2addr_stride64_b64 v[17:20], v236 offset0:20 offset1:21
	s_clause 0x1
	scratch_store_b128 off, v[49:52], off offset:896
	scratch_store_b128 off, v[53:56], off offset:912
	ds_load_b128 v[49:52], v253 offset:10240
	ds_load_b128 v[53:56], v253 offset:14336
	s_clause 0x1
	scratch_store_b128 off, v[237:240], off offset:928
	scratch_store_b128 off, v[241:244], off offset:944
	s_waitcnt vmcnt(0)
	v_wmma_f32_16x16x16_f16 v[9:16], v[25:32], v[73:80], v[9:16]
	ds_load_b128 v[73:76], v253 offset:9216
	ds_load_b128 v[77:80], v253 offset:13312
	ds_load_2addr_stride64_b64 v[25:28], v236 offset0:16 offset1:17
	ds_load_2addr_stride64_b64 v[29:32], v236 offset0:18 offset1:19
	s_clause 0x1
	scratch_store_b128 off, v[9:12], off offset:224
	scratch_store_b128 off, v[13:16], off offset:240
	ds_load_2addr_stride64_b64 v[9:12], v236 offset0:22 offset1:23
	ds_load_2addr_stride64_b64 v[13:16], v236 offset0:30 offset1:31
	; sched_barrier mask(0x00000000)
	scratch_load_b128 v[0:3], off, off offset:1716 ; 16-byte Folded Reload
	v_dual_mov_b32 v218, v89 :: v_dual_mov_b32 v219, v90
	v_dual_mov_b32 v222, v93 :: v_dual_mov_b32 v223, v94
	;; [unrolled: 1-line block ×8, first 2 shown]
	v_perm_b32 v173, v225, v114, 0x5040100
	v_perm_b32 v175, v225, v114, 0x7060302
	s_waitcnt vmcnt(0)
	v_dual_mov_b32 v216, v0 :: v_dual_mov_b32 v217, v1
	v_dual_mov_b32 v89, v2 :: v_dual_mov_b32 v90, v3
	scratch_load_b128 v[0:3], off, off offset:1344 ; 16-byte Folded Reload
	s_waitcnt vmcnt(0) lgkmcnt(0)
	s_waitcnt_vscnt null, 0x0
	s_barrier
	s_clause 0x6
	scratch_load_b128 v[237:240], off, off offset:736
	scratch_load_b128 v[241:244], off, off offset:752
	scratch_load_b32 v141, off, off offset:1756
	scratch_load_b32 v144, off, off offset:1752
	;; [unrolled: 1-line block ×5, first 2 shown]
	v_dual_mov_b32 v220, v0 :: v_dual_mov_b32 v221, v1
	v_dual_mov_b32 v93, v2 :: v_dual_mov_b32 v94, v3
	s_waitcnt vmcnt(5)
	v_wmma_f32_16x16x16_f16 v[237:244], v[208:215], v[105:112], v[237:244]
	s_delay_alu instid0(VALU_DEP_3)
	v_wmma_f32_16x16x16_f16 v[65:72], v[129:136], v[216:223], v[65:72]
	s_clause 0x3
	scratch_load_b128 v[0:3], off, off offset:192
	scratch_load_b128 v[4:7], off, off offset:208
	;; [unrolled: 1-line block ×4, first 2 shown]
	s_clause 0x1
	scratch_store_b128 off, v[237:240], off offset:736
	scratch_store_b128 off, v[241:244], off offset:752
	s_waitcnt vmcnt(0)
	v_wmma_f32_16x16x16_f16 v[0:7], v[33:40], v[216:223], v[0:7]
	s_clause 0x1
	scratch_store_b128 off, v[0:3], off offset:192
	scratch_store_b128 off, v[4:7], off offset:208
	s_clause 0x1
	scratch_load_b128 v[0:3], off, off offset:160
	scratch_load_b128 v[4:7], off, off offset:176
	s_waitcnt vmcnt(0)
	v_wmma_f32_16x16x16_f16 v[0:7], v[33:40], v[89:96], v[0:7]
	scratch_load_b32 v172, off, off offset:1748 ; 4-byte Folded Reload
	s_clause 0x1
	scratch_store_b128 off, v[0:3], off offset:160
	scratch_store_b128 off, v[4:7], off offset:176
	scratch_load_b128 v[0:3], off, off offset:1668 ; 16-byte Folded Reload
	s_waitcnt vmcnt(0)
	ds_store_b128 v172, v[0:3]
	s_clause 0x1
	scratch_load_b128 v[0:3], off, off offset:352
	scratch_load_b128 v[4:7], off, off offset:368
	s_waitcnt vmcnt(0)
	v_wmma_f32_16x16x16_f16 v[0:7], v[33:40], v[156:163], v[0:7]
	s_clause 0x1
	scratch_store_b128 off, v[0:3], off offset:352
	scratch_store_b128 off, v[4:7], off offset:368
	scratch_load_b32 v0, off, off offset:1652 ; 4-byte Folded Reload
	s_waitcnt vmcnt(0)
	buffer_load_b128 v[0:3], v0, s[8:11], 0 offen offset:256
	s_waitcnt vmcnt(0)
	scratch_store_b128 off, v[0:3], off offset:1668 ; 16-byte Folded Spill
	s_clause 0x1
	scratch_load_b128 v[0:3], off, off offset:320
	scratch_load_b128 v[4:7], off, off offset:336
	s_waitcnt vmcnt(0)
	v_wmma_f32_16x16x16_f16 v[0:7], v[33:40], v[105:112], v[0:7]
	s_clause 0x1
	scratch_load_b128 v[33:36], off, off offset:608
	scratch_load_b128 v[37:40], off, off offset:624
	s_clause 0x1
	scratch_store_b128 off, v[0:3], off offset:320
	scratch_store_b128 off, v[4:7], off offset:336
	s_clause 0x1
	scratch_load_b128 v[0:3], off, off
	scratch_load_b128 v[4:7], off, off offset:16
	s_waitcnt vmcnt(0)
	v_wmma_f32_16x16x16_f16 v[0:7], v[176:183], v[216:223], v[0:7]
	s_clause 0x1
	scratch_store_b128 off, v[0:3], off
	scratch_store_b128 off, v[4:7], off offset:16
	s_clause 0x1
	scratch_load_b128 v[0:3], off, off offset:32
	scratch_load_b128 v[4:7], off, off offset:48
	s_waitcnt vmcnt(0)
	v_wmma_f32_16x16x16_f16 v[0:7], v[176:183], v[89:96], v[0:7]
	s_clause 0x1
	scratch_store_b128 off, v[0:3], off offset:32
	scratch_store_b128 off, v[4:7], off offset:48
	s_clause 0x1
	scratch_load_b128 v[0:3], off, off offset:64
	scratch_load_b128 v[4:7], off, off offset:80
	s_waitcnt vmcnt(0)
	v_wmma_f32_16x16x16_f16 v[0:7], v[176:183], v[156:163], v[0:7]
	s_clause 0x1
	scratch_store_b128 off, v[0:3], off offset:64
	scratch_store_b128 off, v[4:7], off offset:80
	scratch_load_b128 v[0:3], off, off offset:1440 ; 16-byte Folded Reload
	s_waitcnt vmcnt(0)
	ds_store_b128 v172, v[0:3] offset:16
	s_clause 0x1
	scratch_load_b128 v[0:3], off, off offset:128
	scratch_load_b128 v[4:7], off, off offset:144
	s_waitcnt vmcnt(0)
	v_wmma_f32_16x16x16_f16 v[0:7], v[176:183], v[105:112], v[0:7]
	s_clause 0x1
	scratch_store_b128 off, v[0:3], off offset:128
	scratch_store_b128 off, v[4:7], off offset:144
	s_clause 0x1
	scratch_load_b128 v[0:3], off, off offset:96
	scratch_load_b128 v[4:7], off, off offset:112
	buffer_load_b128 v[81:84], v8, s[8:11], 0 offen offset:256
	scratch_load_b32 v8, off, off offset:1568 ; 4-byte Folded Reload
	s_waitcnt vmcnt(2)
	v_wmma_f32_16x16x16_f16 v[0:7], v[184:191], v[89:96], v[0:7]
	s_waitcnt vmcnt(1)
	scratch_store_b128 off, v[81:84], off offset:1440 ; 16-byte Folded Spill
	s_clause 0x1
	scratch_load_b128 v[81:84], off, off offset:768
	scratch_load_b128 v[85:88], off, off offset:784
	s_clause 0x1
	scratch_store_b128 off, v[0:3], off offset:96
	scratch_store_b128 off, v[4:7], off offset:112
	s_clause 0x1
	scratch_load_b128 v[0:3], off, off offset:288
	scratch_load_b128 v[4:7], off, off offset:304
	s_waitcnt vmcnt(0)
	v_wmma_f32_16x16x16_f16 v[0:7], v[184:191], v[156:163], v[0:7]
	s_clause 0x1
	scratch_store_b128 off, v[0:3], off offset:288
	scratch_store_b128 off, v[4:7], off offset:304
	ds_load_2addr_stride64_b64 v[0:3], v154 offset0:32 offset1:33
	s_waitcnt lgkmcnt(0)
	scratch_store_b128 off, v[0:3], off offset:1652 ; 16-byte Folded Spill
	s_clause 0x1
	scratch_load_b128 v[0:3], off, off offset:256
	scratch_load_b128 v[4:7], off, off offset:272
	s_waitcnt vmcnt(0)
	v_wmma_f32_16x16x16_f16 v[0:7], v[184:191], v[105:112], v[0:7]
	v_wmma_f32_16x16x16_f16 v[81:88], v[184:191], v[216:223], v[81:88]
	v_dual_mov_b32 v180, v245 :: v_dual_mov_b32 v181, v246
	v_dual_mov_b32 v182, v247 :: v_dual_mov_b32 v183, v248
	;; [unrolled: 1-line block ×4, first 2 shown]
	s_clause 0x1
	scratch_load_b128 v[245:248], off, off offset:448
	scratch_load_b128 v[249:252], off, off offset:464
	s_clause 0x1
	scratch_store_b128 off, v[81:84], off offset:768
	scratch_store_b128 off, v[85:88], off offset:784
	v_wmma_f32_16x16x16_f16 v[180:187], v[121:128], v[89:96], v[180:187]
	s_clause 0x1
	scratch_store_b128 off, v[0:3], off offset:256
	scratch_store_b128 off, v[4:7], off offset:272
	buffer_load_b128 v[81:84], v171, s[8:11], 0 offen offset:256
	s_clause 0x2
	scratch_load_b128 v[0:3], off, off offset:1408
	scratch_load_b128 v[164:167], off, off offset:672
	;; [unrolled: 1-line block ×3, first 2 shown]
	s_waitcnt vmcnt(4)
	v_wmma_f32_16x16x16_f16 v[245:252], v[208:215], v[216:223], v[245:252]
	s_clause 0x1
	scratch_store_b128 off, v[245:248], off offset:448
	scratch_store_b128 off, v[249:252], off offset:464
	s_clause 0x1
	scratch_load_b128 v[245:248], off, off offset:864
	scratch_load_b128 v[249:252], off, off offset:880
	s_waitcnt vmcnt(5)
	scratch_store_b128 off, v[81:84], off offset:1408 ; 16-byte Folded Spill
	s_clause 0x1
	scratch_load_b128 v[81:84], off, off offset:640
	scratch_load_b128 v[85:88], off, off offset:656
	s_waitcnt vmcnt(2)
	v_wmma_f32_16x16x16_f16 v[245:252], v[208:215], v[89:96], v[245:252]
	s_clause 0x1
	scratch_store_b128 off, v[245:248], off offset:864
	scratch_store_b128 off, v[249:252], off offset:880
	s_clause 0x1
	scratch_load_b128 v[245:248], off, off offset:416
	scratch_load_b128 v[249:252], off, off offset:432
	s_waitcnt vmcnt(0)
	v_wmma_f32_16x16x16_f16 v[245:252], v[208:215], v[156:163], v[245:252]
	ds_load_b128 v[212:215], v155 offset:2048
	s_clause 0x1
	scratch_store_b128 off, v[245:248], off offset:416
	scratch_store_b128 off, v[249:252], off offset:432
	s_clause 0x1
	scratch_load_b128 v[245:248], off, off offset:480
	scratch_load_b128 v[249:252], off, off offset:496
	s_waitcnt vmcnt(0)
	v_wmma_f32_16x16x16_f16 v[245:252], v[129:136], v[89:96], v[245:252]
	v_wmma_f32_16x16x16_f16 v[33:40], v[192:199], v[89:96], v[33:40]
	;; [unrolled: 1-line block ×3, first 2 shown]
	s_clause 0x3
	scratch_store_b128 off, v[245:248], off offset:480
	scratch_store_b128 off, v[33:36], off offset:608
	;; [unrolled: 1-line block ×4, first 2 shown]
	s_clause 0x1
	scratch_load_b128 v[81:84], off, off offset:384
	scratch_load_b128 v[85:88], off, off offset:400
	scratch_store_b128 off, v[37:40], off offset:624 ; 16-byte Folded Spill
	s_clause 0x1
	scratch_load_b128 v[33:36], off, off offset:704
	scratch_load_b128 v[37:40], off, off offset:720
	scratch_store_b128 off, v[249:252], off offset:496 ; 16-byte Folded Spill
	s_clause 0x1
	scratch_load_b128 v[245:248], off, off offset:768
	scratch_load_b128 v[249:252], off, off offset:784
	s_waitcnt vmcnt(4)
	v_wmma_f32_16x16x16_f16 v[81:88], v[200:207], v[89:96], v[81:88]
	s_clause 0x1
	scratch_load_b128 v[89:92], off, off offset:224
	scratch_load_b128 v[93:96], off, off offset:240
	s_clause 0x1
	scratch_store_b128 off, v[81:84], off offset:384
	scratch_store_b128 off, v[85:88], off offset:400
	s_waitcnt vmcnt(0)
	v_wmma_f32_16x16x16_f16 v[89:96], v[121:128], v[105:112], v[89:96]
	v_wmma_f32_16x16x16_f16 v[33:40], v[192:199], v[105:112], v[33:40]
	s_clause 0x2
	scratch_store_b128 off, v[89:92], off offset:224
	scratch_store_b128 off, v[33:36], off offset:704
	;; [unrolled: 1-line block ×3, first 2 shown]
	buffer_load_b128 v[85:88], v153, s[8:11], 0 offen
	scratch_load_b128 v[37:40], off, off offset:1312 ; 16-byte Folded Reload
	scratch_store_b128 off, v[93:96], off offset:240 ; 16-byte Folded Spill
	v_perm_b32 v90, v226, v115, 0x5040100
	v_dual_mov_b32 v95, v21 :: v_dual_mov_b32 v96, v22
	v_dual_mov_b32 v21, v47 :: v_dual_mov_b32 v22, v48
	scratch_load_b32 v153, off, off offset:1604 ; 4-byte Folded Reload
	s_waitcnt vmcnt(2)
	scratch_store_b128 off, v[85:88], off offset:1344 ; 16-byte Folded Spill
	s_clause 0x1
	scratch_load_b128 v[81:84], off, off offset:544
	scratch_load_b128 v[85:88], off, off offset:560
	s_waitcnt vmcnt(0)
	v_wmma_f32_16x16x16_f16 v[81:88], v[200:207], v[156:163], v[81:88]
	s_clause 0x1
	scratch_store_b128 off, v[81:84], off offset:544
	scratch_store_b128 off, v[85:88], off offset:560
	s_clause 0x1
	scratch_load_b128 v[81:84], off, off offset:512
	scratch_load_b128 v[85:88], off, off offset:528
	s_waitcnt vmcnt(0)
	v_wmma_f32_16x16x16_f16 v[81:88], v[200:207], v[105:112], v[81:88]
	s_clause 0x1
	scratch_load_b128 v[200:203], off, off offset:800
	scratch_load_b128 v[204:207], off, off offset:816
	s_clause 0x1
	scratch_store_b128 off, v[81:84], off offset:512
	scratch_store_b128 off, v[85:88], off offset:528
	scratch_load_b128 v[81:84], off, off offset:1216 ; 16-byte Folded Reload
	v_perm_b32 v86, v224, v113, 0x5040100
	v_perm_b32 v88, v224, v113, 0x7060302
	scratch_load_b32 v113, off, off offset:1628 ; 4-byte Folded Reload
	s_waitcnt vmcnt(2)
	v_wmma_f32_16x16x16_f16 v[200:207], v[129:136], v[105:112], v[200:207]
	ds_store_b128 v172, v[37:40] offset:48
	scratch_load_b128 v[37:40], off, off offset:1636 ; 16-byte Folded Reload
	ds_store_b128 v172, v[0:3] offset:32
	s_clause 0x1
	scratch_load_b128 v[0:3], off, off offset:576
	scratch_load_b128 v[4:7], off, off offset:592
	s_waitcnt vmcnt(4)
	v_dual_mov_b32 v139, v84 :: v_dual_mov_b32 v138, v83
	v_mov_b32_e32 v137, v82
	v_perm_b32 v110, v227, v116, 0x5040100
	v_perm_b32 v112, v227, v116, 0x7060302
	scratch_load_b32 v116, off, off offset:1620 ; 4-byte Folded Reload
	v_dual_mov_b32 v93, v138 :: v_dual_mov_b32 v94, v139
	s_waitcnt vmcnt(3)
	v_dual_mov_b32 v119, v40 :: v_dual_mov_b32 v118, v39
	v_perm_b32 v85, v81, v37, 0x5040100
	v_perm_b32 v87, v81, v37, 0x7060302
	v_mov_b32_e32 v117, v38
	s_delay_alu instid0(VALU_DEP_4) | instskip(NEXT) | instid1(VALU_DEP_2)
	v_dual_mov_b32 v91, v118 :: v_dual_mov_b32 v92, v119
	v_perm_b32 v172, v137, v117, 0x5040100
	v_perm_b32 v174, v137, v117, 0x7060302
	s_delay_alu instid0(VALU_DEP_3)
	v_perm_b32 v89, v93, v91, 0x5040100
	v_perm_b32 v91, v93, v91, 0x7060302
	v_perm_b32 v109, v94, v92, 0x5040100
	v_perm_b32 v111, v94, v92, 0x7060302
	v_perm_b32 v92, v226, v115, 0x7060302
	v_dual_mov_b32 v93, v45 :: v_dual_mov_b32 v94, v46
	ds_load_2addr_stride64_b64 v[117:120], v236 offset0:26 offset1:27
	ds_store_b128 v141, v[89:92] offset:32
	s_waitcnt vmcnt(1)
	v_wmma_f32_16x16x16_f16 v[0:7], v[192:199], v[216:223], v[0:7]
	v_dual_mov_b32 v89, v25 :: v_dual_mov_b32 v90, v26
	v_dual_mov_b32 v91, v17 :: v_dual_mov_b32 v92, v18
	;; [unrolled: 1-line block ×3, first 2 shown]
	s_delay_alu instid0(VALU_DEP_2)
	v_wmma_f32_16x16x16_f16 v[0:7], v[57:64], v[89:96], v[0:7]
	s_clause 0x1
	scratch_store_b128 off, v[0:3], off offset:576
	scratch_store_b128 off, v[4:7], off offset:592
	s_clause 0x1
	scratch_load_b128 v[0:3], off, off offset:608
	scratch_load_b128 v[4:7], off, off offset:624
	s_waitcnt vmcnt(0)
	v_wmma_f32_16x16x16_f16 v[0:7], v[57:64], v[17:24], v[0:7]
	v_wmma_f32_16x16x16_f16 v[164:171], v[192:199], v[156:163], v[164:171]
	s_clause 0x1
	scratch_load_b128 v[192:195], off, off offset:896
	scratch_load_b128 v[196:199], off, off offset:912
	s_clause 0x1
	scratch_store_b128 off, v[0:3], off offset:608
	scratch_store_b128 off, v[4:7], off offset:624
	v_dual_mov_b32 v0, v164 :: v_dual_mov_b32 v1, v165
	v_dual_mov_b32 v2, v166 :: v_dual_mov_b32 v3, v167
	;; [unrolled: 1-line block ×4, first 2 shown]
	s_waitcnt vmcnt(0)
	v_wmma_f32_16x16x16_f16 v[192:199], v[121:128], v[156:163], v[192:199]
	ds_store_b128 v144, v[85:88] offset:16384
	v_add_nc_u32_e32 v85, v254, v253
	buffer_load_b128 v[37:40], v85, s[12:15], 0 offen
	s_clause 0x1
	scratch_load_b128 v[81:84], off, off offset:832
	scratch_load_b128 v[85:88], off, off offset:848
	s_waitcnt vmcnt(2)
	scratch_store_b128 off, v[37:40], off offset:1472 ; 16-byte Folded Spill
	s_waitcnt vmcnt(0)
	v_wmma_f32_16x16x16_f16 v[81:88], v[129:136], v[156:163], v[81:88]
	v_add_nc_u32_e32 v129, v254, v153
	scratch_load_b32 v158, off, off offset:1624 ; 4-byte Folded Reload
	buffer_load_b128 v[129:132], v129, s[12:15], 0 offen
	s_waitcnt vmcnt(0)
	scratch_store_b128 off, v[129:132], off offset:1280 ; 16-byte Folded Spill
	s_clause 0x1
	scratch_load_b128 v[129:132], off, off offset:928
	scratch_load_b128 v[133:136], off, off offset:944
	s_waitcnt vmcnt(0)
	v_wmma_f32_16x16x16_f16 v[129:136], v[121:128], v[216:223], v[129:136]
	v_dual_mov_b32 v125, v29 :: v_dual_mov_b32 v126, v30
	v_dual_mov_b32 v127, v9 :: v_dual_mov_b32 v128, v10
	s_clause 0x1
	scratch_store_b128 off, v[129:132], off offset:928
	scratch_store_b128 off, v[133:136], off offset:944
	v_dual_mov_b32 v129, v41 :: v_dual_mov_b32 v130, v42
	v_dual_mov_b32 v131, v13 :: v_dual_mov_b32 v132, v14
	v_dual_mov_b32 v9, v31 :: v_dual_mov_b32 v10, v32
	v_dual_mov_b32 v13, v43 :: v_dual_mov_b32 v14, v44
	s_delay_alu instid0(VALU_DEP_3)
	v_wmma_f32_16x16x16_f16 v[0:7], v[57:64], v[125:132], v[0:7]
	s_clause 0x3
	scratch_load_b128 v[25:28], off, off offset:192
	scratch_load_b128 v[29:32], off, off offset:208
	;; [unrolled: 1-line block ×4, first 2 shown]
	s_clause 0x1
	scratch_store_b128 off, v[0:3], off offset:672
	scratch_store_b128 off, v[4:7], off offset:688
	s_clause 0x5
	scratch_load_b128 v[0:3], off, off offset:704
	scratch_load_b128 v[4:7], off, off offset:720
	;; [unrolled: 1-line block ×4, first 2 shown]
	scratch_load_b32 v41, off, off offset:1616
	scratch_load_b32 v42, off, off offset:1612
	ds_load_b128 v[216:219], v155 offset:6144
	s_waitcnt vmcnt(4)
	v_wmma_f32_16x16x16_f16 v[0:7], v[57:64], v[9:16], v[0:7]
	s_clause 0x1
	scratch_store_b128 off, v[0:3], off offset:704
	scratch_store_b128 off, v[4:7], off offset:720
	s_clause 0x1
	scratch_load_b128 v[0:3], off, off offset:640
	scratch_load_b128 v[4:7], off, off offset:656
	s_waitcnt vmcnt(0)
	v_wmma_f32_16x16x16_f16 v[0:7], v[49:56], v[89:96], v[0:7]
	s_clause 0x1
	scratch_store_b128 off, v[0:3], off offset:640
	scratch_store_b128 off, v[4:7], off offset:656
	s_clause 0x1
	scratch_load_b128 v[0:3], off, off offset:384
	scratch_load_b128 v[4:7], off, off offset:400
	s_waitcnt vmcnt(0)
	v_wmma_f32_16x16x16_f16 v[0:7], v[49:56], v[17:24], v[0:7]
	s_clause 0x1
	scratch_store_b128 off, v[0:3], off offset:384
	scratch_store_b128 off, v[4:7], off offset:400
	s_clause 0x1
	scratch_load_b128 v[0:3], off, off offset:544
	scratch_load_b128 v[4:7], off, off offset:560
	s_waitcnt vmcnt(0)
	v_wmma_f32_16x16x16_f16 v[0:7], v[49:56], v[125:132], v[0:7]
	s_clause 0x1
	scratch_store_b128 off, v[0:3], off offset:544
	scratch_store_b128 off, v[4:7], off offset:560
	s_clause 0x1
	scratch_load_b128 v[0:3], off, off offset:512
	scratch_load_b128 v[4:7], off, off offset:528
	s_waitcnt vmcnt(0)
	v_wmma_f32_16x16x16_f16 v[0:7], v[49:56], v[9:16], v[0:7]
	s_clause 0x1
	scratch_load_b128 v[43:46], off, off offset:1024
	scratch_load_b128 v[47:50], off, off offset:1040
	s_clause 0x1
	scratch_store_b128 off, v[0:3], off offset:512
	scratch_store_b128 off, v[4:7], off offset:528
	s_clause 0x1
	scratch_load_b128 v[0:3], off, off offset:448
	scratch_load_b128 v[4:7], off, off offset:464
	s_waitcnt vmcnt(0)
	v_wmma_f32_16x16x16_f16 v[0:7], v[43:50], v[89:96], v[0:7]
	s_clause 0x1
	scratch_store_b128 off, v[0:3], off offset:448
	scratch_store_b128 off, v[4:7], off offset:464
	s_clause 0x1
	scratch_load_b128 v[0:3], off, off offset:416
	scratch_load_b128 v[4:7], off, off offset:432
	s_waitcnt vmcnt(0)
	v_wmma_f32_16x16x16_f16 v[0:7], v[43:50], v[125:132], v[0:7]
	v_wmma_f32_16x16x16_f16 v[25:32], v[145:152], v[89:96], v[25:32]
	ds_load_2addr_stride64_b64 v[133:136], v154 offset0:34 offset1:35
	scratch_load_b32 v154, off, off offset:1600 ; 4-byte Folded Reload
	; sched_group_barrier mask(0x00000008) size(1) SyncID(0)
	s_clause 0x3
	scratch_store_b128 off, v[0:3], off offset:416
	scratch_store_b128 off, v[25:28], off offset:192
	;; [unrolled: 1-line block ×4, first 2 shown]
	s_clause 0x1
	scratch_load_b128 v[0:3], off, off offset:480
	scratch_load_b128 v[4:7], off, off offset:496
	s_waitcnt vmcnt(2)
	v_add_nc_u32_e32 v105, v254, v154
	buffer_load_b128 v[25:28], v105, s[12:15], 0 offen
	s_waitcnt vmcnt(0)
	scratch_store_b128 off, v[25:28], off offset:1376 ; 16-byte Folded Spill
	s_clause 0x1
	scratch_load_b128 v[25:28], off, off offset:160
	scratch_load_b128 v[29:32], off, off offset:176
	s_waitcnt vmcnt(0)
	v_wmma_f32_16x16x16_f16 v[25:32], v[145:152], v[17:24], v[25:32]
	s_clause 0x1
	scratch_store_b128 off, v[25:28], off offset:160
	scratch_store_b128 off, v[29:32], off offset:176
	s_clause 0x1
	scratch_load_b128 v[25:28], off, off offset:352
	scratch_load_b128 v[29:32], off, off offset:368
	s_waitcnt vmcnt(0)
	v_wmma_f32_16x16x16_f16 v[25:32], v[145:152], v[125:132], v[25:32]
	s_clause 0x1
	scratch_store_b128 off, v[25:28], off offset:352
	scratch_store_b128 off, v[29:32], off offset:368
	;; [unrolled: 8-line block ×3, first 2 shown]
	s_clause 0x1
	scratch_load_b128 v[25:28], off, off
	scratch_load_b128 v[29:32], off, off offset:16
	s_waitcnt vmcnt(0)
	v_wmma_f32_16x16x16_f16 v[25:32], v[97:104], v[89:96], v[25:32]
	s_clause 0x1
	scratch_store_b128 off, v[25:28], off
	scratch_store_b128 off, v[29:32], off offset:16
	s_clause 0x1
	scratch_load_b128 v[25:28], off, off offset:32
	scratch_load_b128 v[29:32], off, off offset:48
	s_waitcnt vmcnt(0)
	v_wmma_f32_16x16x16_f16 v[25:32], v[97:104], v[17:24], v[25:32]
	s_clause 0x1
	scratch_store_b128 off, v[25:28], off offset:32
	scratch_store_b128 off, v[29:32], off offset:48
	s_clause 0x1
	scratch_load_b128 v[25:28], off, off offset:64
	scratch_load_b128 v[29:32], off, off offset:80
	s_waitcnt vmcnt(0)
	v_wmma_f32_16x16x16_f16 v[25:32], v[97:104], v[125:132], v[25:32]
	s_clause 0x1
	scratch_store_b128 off, v[25:28], off offset:64
	scratch_store_b128 off, v[29:32], off offset:80
	s_clause 0x1
	scratch_load_b128 v[25:28], off, off offset:128
	scratch_load_b128 v[29:32], off, off offset:144
	s_waitcnt vmcnt(0)
	v_wmma_f32_16x16x16_f16 v[25:32], v[97:104], v[9:16], v[25:32]
	ds_load_2addr_stride64_b64 v[97:100], v236 offset0:20 offset1:21
	ds_load_2addr_stride64_b64 v[101:104], v236 offset0:28 offset1:29
	s_clause 0x1
	scratch_store_b128 off, v[25:28], off offset:128
	scratch_store_b128 off, v[29:32], off offset:144
	s_clause 0x1
	scratch_load_b128 v[25:28], off, off offset:96
	scratch_load_b128 v[29:32], off, off offset:112
	s_waitcnt vmcnt(0)
	v_wmma_f32_16x16x16_f16 v[25:32], v[73:80], v[17:24], v[25:32]
	s_clause 0x1
	scratch_store_b128 off, v[25:28], off offset:96
	scratch_store_b128 off, v[29:32], off offset:112
	s_clause 0x1
	scratch_load_b128 v[25:28], off, off offset:288
	scratch_load_b128 v[29:32], off, off offset:304
	s_waitcnt vmcnt(0)
	v_wmma_f32_16x16x16_f16 v[25:32], v[73:80], v[125:132], v[25:32]
	;; [unrolled: 8-line block ×3, first 2 shown]
	s_clause 0x1
	scratch_store_b128 off, v[25:28], off offset:256
	scratch_store_b128 off, v[29:32], off offset:272
	ds_load_b128 v[29:32], v155 offset:4608
	ds_store_b128 v141, v[172:175] offset:16
	s_clause 0x1
	scratch_load_b128 v[172:175], off, off offset:736
	scratch_load_b128 v[176:179], off, off offset:752
	; sched_group_barrier mask(0x00000100) size(1) SyncID(0)
	s_waitcnt vmcnt(0)
	v_wmma_f32_16x16x16_f16 v[172:179], v[43:50], v[9:16], v[172:179]
	ds_load_b128 v[25:28], v155 offset:512
	; sched_group_barrier mask(0x00000008) size(1) SyncID(0)
	; sched_group_barrier mask(0x00000200) size(1) SyncID(0)
	s_waitcnt lgkmcnt(0)
	s_clause 0x1
	scratch_store_b128 off, v[25:28], off offset:768
	scratch_store_b128 off, v[29:32], off offset:784
	s_clause 0x1
	scratch_load_b128 v[25:28], off, off offset:960
	scratch_load_b128 v[29:32], off, off offset:976
	s_waitcnt vmcnt(0)
	v_wmma_f32_16x16x16_f16 v[200:207], v[25:32], v[9:16], v[200:207]
	v_wmma_f32_16x16x16_f16 v[220:227], v[43:50], v[17:24], v[220:227]
	;; [unrolled: 1-line block ×5, first 2 shown]
	ds_load_b128 v[228:231], v155
	ds_load_b128 v[232:235], v155 offset:4096
	s_clause 0x1
	scratch_store_b128 off, v[0:3], off offset:480
	scratch_store_b128 off, v[4:7], off offset:496
	s_clause 0x1
	scratch_load_b128 v[0:3], off, off offset:992
	scratch_load_b128 v[4:7], off, off offset:1008
	v_wmma_f32_16x16x16_f16 v[245:252], v[73:80], v[89:96], v[245:252]
	ds_load_2addr_stride64_b64 v[121:124], v236 offset0:10 offset1:11
	ds_store_b128 v141, v[109:112] offset:48
	v_add_nc_u32_e32 v109, v254, v8
	s_clause 0x3
	scratch_store_b128 off, v[81:84], off offset:832
	scratch_store_b128 off, v[85:88], off offset:848
	;; [unrolled: 1-line block ×4, first 2 shown]
	buffer_load_b128 v[208:211], v109, s[12:15], 0 offen
	ds_load_2addr_stride64_b64 v[109:112], v236 offset0:14 offset1:15
	ds_load_2addr_stride64_b64 v[105:108], v236 offset0:6 offset1:7
	;; [unrolled: 1-line block ×5, first 2 shown]
	s_waitcnt lgkmcnt(7)
	v_dual_mov_b32 v145, v228 :: v_dual_mov_b32 v146, v229
	v_dual_mov_b32 v147, v230 :: v_dual_mov_b32 v148, v231
	;; [unrolled: 1-line block ×4, first 2 shown]
	scratch_load_b128 v[228:231], off, off offset:1668 ; 16-byte Folded Reload
	ds_load_2addr_stride64_b64 v[232:235], v236 offset0:24 offset1:25
	; sched_group_barrier mask(0x00000008) size(1) SyncID(0)
	; sched_group_barrier mask(0x00000020) size(1) SyncID(0)
	;; [unrolled: 1-line block ×80, first 2 shown]
	s_waitcnt lgkmcnt(2)
	v_dual_mov_b32 v88, v40 :: v_dual_mov_b32 v87, v39
	v_dual_mov_b32 v86, v38 :: v_dual_mov_b32 v85, v37
	;; [unrolled: 1-line block ×4, first 2 shown]
	s_waitcnt vmcnt(2)
	v_wmma_f32_16x16x16_f16 v[180:187], v[0:7], v[17:24], v[180:187]
	v_mov_b32_e32 v24, v7
	v_wmma_f32_16x16x16_f16 v[237:244], v[0:7], v[89:96], v[237:244]
	v_wmma_f32_16x16x16_f16 v[192:199], v[0:7], v[125:132], v[192:199]
	v_dual_mov_b32 v23, v6 :: v_dual_mov_b32 v22, v5
	v_dual_mov_b32 v21, v4 :: v_dual_mov_b32 v20, v3
	;; [unrolled: 1-line block ×3, first 2 shown]
	v_mov_b32_e32 v17, v0
	s_clause 0x1
	scratch_load_b128 v[0:3], off, off offset:224
	scratch_load_b128 v[4:7], off, off offset:240
	ds_load_2addr_stride64_b64 v[89:92], v236 offset0:22 offset1:23
	ds_load_2addr_stride64_b64 v[93:96], v236 offset0:30 offset1:31
	;; [unrolled: 1-line block ×4, first 2 shown]
	s_clause 0x3
	scratch_store_b128 off, v[180:183], off offset:960
	scratch_store_b128 off, v[184:187], off offset:976
	;; [unrolled: 1-line block ×4, first 2 shown]
	s_waitcnt vmcnt(0)
	v_wmma_f32_16x16x16_f16 v[0:7], v[17:24], v[9:16], v[0:7]
	s_clause 0x1
	scratch_store_b128 off, v[0:3], off offset:224
	scratch_store_b128 off, v[4:7], off offset:240
	ds_load_b128 v[0:3], v155 offset:1024
	ds_load_b128 v[4:7], v155 offset:5120
	s_waitcnt lgkmcnt(0)
	s_clause 0x1
	scratch_store_b128 off, v[0:3], off offset:1312
	scratch_store_b128 off, v[4:7], off offset:1328
	ds_load_b128 v[0:3], v155 offset:1536
	ds_load_b128 v[4:7], v155 offset:5632
	s_waitcnt lgkmcnt(0)
	;; [unrolled: 6-line block ×13, first 2 shown]
	s_clause 0x1
	scratch_store_b128 off, v[0:3], off offset:992
	scratch_store_b128 off, v[4:7], off offset:1008
	s_clause 0x1
	scratch_load_b128 v[0:3], off, off offset:1652
	; sched_barrier mask(0x00000000)
	scratch_load_b32 v204, off, off offset:1608
	v_dual_mov_b32 v187, v86 :: v_dual_add_nc_u32 v8, s16, v8
	s_waitcnt vmcnt(1)
	v_dual_mov_b32 v49, v2 :: v_dual_add_nc_u32 v154, s16, v154
	v_dual_mov_b32 v180, v0 :: v_dual_add_nc_u32 v153, s16, v153
	;; [unrolled: 1-line block ×10, first 2 shown]
	v_dual_mov_b32 v18, v104 :: v_dual_mov_b32 v73, v127
	v_dual_mov_b32 v166, v94 :: v_dual_mov_b32 v75, v91
	v_dual_mov_b32 v80, v96 :: v_dual_mov_b32 v77, v119
	v_dual_mov_b32 v74, v128 :: v_dual_mov_b32 v79, v95
	v_dual_mov_b32 v76, v92 :: v_dual_mov_b32 v161, v89
	v_dual_mov_b32 v78, v120 :: v_dual_mov_b32 v163, v117
	v_dual_mov_b32 v160, v126 :: v_dual_mov_b32 v165, v93
	v_dual_mov_b32 v162, v90 :: v_dual_mov_b32 v13, v99
	v_dual_mov_b32 v164, v118 :: v_dual_mov_b32 v17, v103
	v_dual_mov_b32 v12, v132 :: v_dual_mov_b32 v15, v234
	v_dual_mov_b32 v14, v100 :: v_dual_mov_b32 v139, v97
	v_dual_mov_b32 v16, v235 :: v_dual_mov_b32 v141, v232
	v_dual_mov_b32 v138, v130 :: v_dual_mov_b32 v143, v101
	v_dual_mov_b32 v140, v98 :: v_dual_mov_b32 v25, v136
	v_dual_mov_b32 v142, v233 :: v_dual_mov_b32 v27, v108
	v_dual_mov_b32 v26, v107 :: v_dual_mov_b32 v29, v124
	v_dual_mov_b32 v28, v123 :: v_dual_mov_b32 v35, v105
	v_dual_mov_b32 v30, v111 :: v_dual_mov_b32 v37, v121
	v_dual_mov_b32 v34, v134 :: v_dual_mov_b32 v39, v109
	v_dual_mov_b32 v36, v106 :: v_dual_mov_b32 v51, v83
	v_dual_mov_b32 v38, v122 :: v_dual_mov_b32 v55, v87
	v_dual_mov_b32 v50, v3 :: v_dual_mov_b32 v53, v190
	v_dual_mov_b32 v52, v84 :: v_dual_mov_b32 v181, v1
	v_dual_mov_b32 v54, v191 :: v_dual_mov_b32 v183, v82
	v_mov_b32_e32 v182, v81
	v_dual_mov_b32 v184, v188 :: v_dual_mov_b32 v185, v189
	v_mov_b32_e32 v186, v85
	s_add_i32 s23, s23, 2
	s_clause 0x1
	scratch_store_b32 off, v253, off offset:1504
	scratch_store_b32 off, v255, off offset:1536
	s_cmp_lt_i32 s23, s6
	s_waitcnt vmcnt(0)
	v_dual_mov_b32 v33, v133 :: v_dual_add_nc_u32 v204, s16, v204
	s_cbranch_scc1 .LBB3_10
; %bb.11:
	v_dual_mov_b32 v25, v0 :: v_dual_mov_b32 v26, v1
	v_dual_mov_b32 v27, v81 :: v_dual_mov_b32 v28, v82
	;; [unrolled: 1-line block ×3, first 2 shown]
	s_waitcnt lgkmcnt(0)
	s_waitcnt_vscnt null, 0x0
	s_barrier
	s_clause 0x1
	scratch_load_b128 v[0:3], off, off offset:192
	scratch_load_b128 v[4:7], off, off offset:208
	v_mov_b32_e32 v9, v145
	v_dual_mov_b32 v29, v188 :: v_dual_mov_b32 v30, v189
	v_dual_mov_b32 v31, v85 :: v_dual_mov_b32 v32, v86
	v_dual_mov_b32 v10, v146 :: v_dual_mov_b32 v11, v147
	v_dual_mov_b32 v12, v148 :: v_dual_mov_b32 v13, v149
	v_dual_mov_b32 v14, v150 :: v_dual_mov_b32 v15, v151
	v_mov_b32_e32 v16, v152
	scratch_load_b32 v8, off, off offset:1732 ; 4-byte Folded Reload
	v_dual_mov_b32 v85, v190 :: v_dual_mov_b32 v86, v191
	s_clause 0x2
	scratch_load_b128 v[141:144], off, off offset:352
	scratch_load_b32 v57, off, off offset:1800
	scratch_load_b128 v[145:148], off, off offset:368
	v_dual_mov_b32 v33, v133 :: v_dual_mov_b32 v34, v134
	v_dual_mov_b32 v35, v105 :: v_dual_mov_b32 v36, v106
	;; [unrolled: 1-line block ×6, first 2 shown]
	s_clause 0xd
	scratch_load_b128 v[17:20], off, off offset:1440
	scratch_load_b32 v49, off, off offset:1796
	scratch_load_b32 v113, off, off offset:1792
	scratch_load_b128 v[50:53], off, off offset:1280
	scratch_load_b128 v[121:124], off, off offset:1472
	;; [unrolled: 1-line block ×11, first 2 shown]
	s_mul_i32 s4, s4, s21
	s_mul_hi_u32 s6, s22, s21
	s_delay_alu instid0(SALU_CYCLE_1)
	s_add_i32 s4, s6, s4
	s_waitcnt vmcnt(18)
	v_wmma_f32_16x16x16_f16 v[0:7], v[9:16], v[25:32], v[0:7]
	; sched_group_barrier mask(0x00000008) size(1) SyncID(0)
	s_clause 0x1
	scratch_store_b128 off, v[0:3], off offset:192
	scratch_store_b128 off, v[4:7], off offset:208
	s_clause 0x1
	scratch_load_b128 v[0:3], off, off offset:160
	scratch_load_b128 v[4:7], off, off offset:176
	s_waitcnt vmcnt(19)
	ds_store_b128 v8, v[228:231]
	; sched_group_barrier mask(0x00000200) size(1) SyncID(0)
	s_waitcnt vmcnt(13)
	ds_load_2addr_stride64_b64 v[228:231], v113 offset0:22 offset1:23
	s_waitcnt vmcnt(11)
	v_perm_b32 v21, v51, v122, 0x5040100
	v_perm_b32 v23, v51, v122, 0x7060302
	s_waitcnt vmcnt(10)
	v_perm_b32 v22, v209, v59, 0x5040100
	v_perm_b32 v24, v209, v59, 0x7060302
	s_waitcnt vmcnt(0)
	v_wmma_f32_16x16x16_f16 v[0:7], v[9:16], v[81:88], v[0:7]
	ds_load_b128 v[41:44], v57
	v_wmma_f32_16x16x16_f16 v[141:148], v[9:16], v[33:40], v[141:148]
	; sched_group_barrier mask(0x00000008) size(1) SyncID(0)
	; sched_group_barrier mask(0x00000100) size(1) SyncID(0)
	;; [unrolled: 1-line block ×4, first 2 shown]
	s_clause 0x1
	scratch_store_b128 off, v[0:3], off offset:160
	scratch_store_b128 off, v[4:7], off offset:176
	s_clause 0x1
	scratch_load_b128 v[0:3], off, off offset:320
	scratch_load_b128 v[4:7], off, off offset:336
	s_waitcnt vmcnt(0)
	v_wmma_f32_16x16x16_f16 v[0:7], v[9:16], v[105:112], v[0:7]
	s_clause 0x1
	scratch_load_b128 v[9:12], off, off offset:768
	scratch_load_b128 v[13:16], off, off offset:784
	v_dual_mov_b32 v207, v7 :: v_dual_mov_b32 v206, v6
	v_dual_mov_b32 v205, v5 :: v_dual_mov_b32 v204, v4
	v_dual_mov_b32 v203, v3 :: v_dual_mov_b32 v202, v2
	v_dual_mov_b32 v201, v1 :: v_dual_mov_b32 v200, v0
	s_clause 0x1
	scratch_load_b128 v[0:3], off, off
	scratch_load_b128 v[4:7], off, off offset:16
	s_waitcnt vmcnt(0)
	v_wmma_f32_16x16x16_f16 v[0:7], v[9:16], v[25:32], v[0:7]
	; sched_group_barrier mask(0x00000008) size(2) SyncID(0)
	s_clause 0x1
	scratch_store_b128 off, v[0:3], off
	scratch_store_b128 off, v[4:7], off offset:16
	s_clause 0x1
	scratch_load_b128 v[0:3], off, off offset:32
	scratch_load_b128 v[4:7], off, off offset:48
	s_waitcnt vmcnt(0)
	v_wmma_f32_16x16x16_f16 v[0:7], v[9:16], v[81:88], v[0:7]
	ds_store_b128 v8, v[17:20] offset:16
	scratch_load_b128 v[17:20], off, off offset:1408 ; 16-byte Folded Reload
	; sched_group_barrier mask(0x00000008) size(1) SyncID(0)
	; sched_group_barrier mask(0x00000200) size(1) SyncID(0)
	s_clause 0x1
	scratch_store_b128 off, v[0:3], off offset:32
	scratch_store_b128 off, v[4:7], off offset:48
	s_clause 0x1
	scratch_load_b128 v[0:3], off, off offset:64
	scratch_load_b128 v[4:7], off, off offset:80
	s_waitcnt vmcnt(0)
	v_wmma_f32_16x16x16_f16 v[0:7], v[9:16], v[33:40], v[0:7]
	ds_load_b128 v[45:48], v57 offset:4096
	s_waitcnt lgkmcnt(0)
	s_clause 0x1
	scratch_store_b128 off, v[41:44], off offset:1440
	scratch_store_b128 off, v[45:48], off offset:1456
	scratch_load_b128 v[41:44], off, off offset:1248 ; 16-byte Folded Reload
	s_clause 0x1
	scratch_store_b128 off, v[0:3], off offset:64
	scratch_store_b128 off, v[4:7], off offset:80
	s_clause 0x2
	scratch_load_b128 v[0:3], off, off offset:128
	scratch_load_b128 v[4:7], off, off offset:144
	;; [unrolled: 1-line block ×3, first 2 shown]
	; sched_group_barrier mask(0x00000008) size(1) SyncID(0)
	; sched_group_barrier mask(0x00000100) size(1) SyncID(0)
	s_waitcnt vmcnt(1)
	v_wmma_f32_16x16x16_f16 v[0:7], v[9:16], v[105:112], v[0:7]
	s_clause 0x1
	scratch_load_b128 v[9:12], off, off offset:1312
	scratch_load_b128 v[13:16], off, off offset:1328
	; sched_group_barrier mask(0x00000008) size(1) SyncID(0)
	; sched_group_barrier mask(0x00000100) size(0) SyncID(0)
	s_clause 0x1
	scratch_store_b128 off, v[0:3], off offset:128
	scratch_store_b128 off, v[4:7], off offset:144
	s_clause 0x1
	scratch_load_b128 v[0:3], off, off offset:96
	scratch_load_b128 v[4:7], off, off offset:112
	s_waitcnt vmcnt(2)
	v_wmma_f32_16x16x16_f16 v[245:252], v[9:16], v[25:32], v[245:252]
	s_waitcnt vmcnt(0)
	v_wmma_f32_16x16x16_f16 v[0:7], v[9:16], v[81:88], v[0:7]
	; sched_group_barrier mask(0x00000008) size(2) SyncID(0)
	s_clause 0x1
	scratch_store_b128 off, v[0:3], off offset:96
	scratch_store_b128 off, v[4:7], off offset:112
	s_clause 0x1
	scratch_load_b128 v[0:3], off, off offset:288
	scratch_load_b128 v[4:7], off, off offset:304
	s_waitcnt vmcnt(0)
	v_wmma_f32_16x16x16_f16 v[0:7], v[9:16], v[33:40], v[0:7]
	ds_store_b128 v8, v[17:20] offset:32
	; sched_group_barrier mask(0x00000008) size(1) SyncID(0)
	; sched_group_barrier mask(0x00000200) size(1) SyncID(0)
	s_clause 0x1
	scratch_store_b128 off, v[0:3], off offset:288
	scratch_store_b128 off, v[4:7], off offset:304
	s_clause 0x1
	scratch_load_b128 v[0:3], off, off offset:256
	scratch_load_b128 v[4:7], off, off offset:272
	s_waitcnt vmcnt(0)
	v_wmma_f32_16x16x16_f16 v[0:7], v[9:16], v[105:112], v[0:7]
	s_clause 0x1
	scratch_load_b128 v[13:16], off, off offset:736
	scratch_load_b128 v[17:20], off, off offset:752
	ds_load_2addr_stride64_b64 v[196:199], v49 offset0:32 offset1:33
	; sched_group_barrier mask(0x00000008) size(1) SyncID(0)
	; sched_group_barrier mask(0x00000100) size(1) SyncID(0)
	s_clause 0x1
	scratch_store_b128 off, v[0:3], off offset:256
	scratch_store_b128 off, v[4:7], off offset:272
	s_clause 0x1
	scratch_load_b128 v[0:3], off, off offset:576
	scratch_load_b128 v[4:7], off, off offset:592
	s_waitcnt vmcnt(0)
	v_wmma_f32_16x16x16_f16 v[0:7], v[13:20], v[25:32], v[0:7]
	; sched_group_barrier mask(0x00000008) size(1) SyncID(0)
	; sched_group_barrier mask(0x00000100) size(0) SyncID(0)
	s_clause 0x1
	scratch_store_b128 off, v[0:3], off offset:576
	scratch_store_b128 off, v[4:7], off offset:592
	s_clause 0x1
	scratch_load_b128 v[0:3], off, off offset:608
	scratch_load_b128 v[4:7], off, off offset:624
	s_waitcnt vmcnt(0)
	v_wmma_f32_16x16x16_f16 v[0:7], v[13:20], v[81:88], v[0:7]
	s_clause 0x1
	scratch_store_b128 off, v[0:3], off offset:608
	scratch_store_b128 off, v[4:7], off offset:624
	s_clause 0x1
	scratch_load_b128 v[0:3], off, off offset:672
	scratch_load_b128 v[4:7], off, off offset:688
	s_waitcnt vmcnt(0)
	v_wmma_f32_16x16x16_f16 v[0:7], v[13:20], v[33:40], v[0:7]
	; sched_group_barrier mask(0x00000008) size(2) SyncID(0)
	s_clause 0x1
	scratch_store_b128 off, v[0:3], off offset:672
	scratch_store_b128 off, v[4:7], off offset:688
	s_clause 0x1
	scratch_load_b128 v[0:3], off, off offset:704
	scratch_load_b128 v[4:7], off, off offset:720
	s_waitcnt vmcnt(0)
	v_wmma_f32_16x16x16_f16 v[0:7], v[13:20], v[105:112], v[0:7]
	scratch_load_b128 v[13:16], off, off offset:1344 ; 16-byte Folded Reload
	; sched_group_barrier mask(0x00000008) size(1) SyncID(0)
	s_clause 0x1
	scratch_store_b128 off, v[0:3], off offset:704
	scratch_store_b128 off, v[4:7], off offset:720
	s_clause 0x1
	scratch_load_b128 v[0:3], off, off offset:640
	scratch_load_b128 v[4:7], off, off offset:656
	s_waitcnt vmcnt(2)
	ds_store_b128 v8, v[13:16] offset:48
	scratch_load_b32 v8, off, off offset:1736 ; 4-byte Folded Reload
	v_perm_b32 v13, v50, v121, 0x5040100
	v_perm_b32 v15, v50, v121, 0x7060302
	;; [unrolled: 1-line block ×4, first 2 shown]
	; sched_group_barrier mask(0x00000200) size(1) SyncID(0)
	s_waitcnt vmcnt(1)
	v_wmma_f32_16x16x16_f16 v[0:7], v[212:219], v[25:32], v[0:7]
	ds_load_2addr_stride64_b64 v[17:20], v113 offset0:4 offset1:5
	; sched_group_barrier mask(0x00000008) size(1) SyncID(0)
	; sched_group_barrier mask(0x00000100) size(1) SyncID(0)
	s_clause 0x1
	scratch_store_b128 off, v[0:3], off offset:640
	scratch_store_b128 off, v[4:7], off offset:656
	s_clause 0x1
	scratch_load_b128 v[0:3], off, off offset:384
	scratch_load_b128 v[4:7], off, off offset:400
	s_waitcnt vmcnt(0)
	v_wmma_f32_16x16x16_f16 v[0:7], v[212:219], v[81:88], v[0:7]
	v_wmma_f32_16x16x16_f16 v[161:168], v[212:219], v[33:40], v[161:168]
	;; [unrolled: 1-line block ×4, first 2 shown]
	ds_store_b128 v8, v[13:16] offset:16384
	s_clause 0x1
	scratch_store_b128 off, v[0:3], off offset:384
	scratch_store_b128 off, v[4:7], off offset:400
	s_clause 0x1
	scratch_load_b128 v[0:3], off, off offset:416
	scratch_load_b128 v[4:7], off, off offset:432
	v_wmma_f32_16x16x16_f16 v[220:227], v[41:48], v[81:88], v[220:227]
	ds_load_2addr_stride64_b64 v[149:152], v113 offset0:8 offset1:9
	v_dual_mov_b32 v8, v65 :: v_dual_mov_b32 v9, v66
	v_dual_mov_b32 v10, v67 :: v_dual_mov_b32 v11, v68
	;; [unrolled: 1-line block ×4, first 2 shown]
	s_clause 0x4
	scratch_load_b128 v[70:73], off, off offset:480
	scratch_load_b128 v[74:77], off, off offset:496
	scratch_load_b32 v16, off, off offset:1788
	scratch_load_b128 v[212:215], off, off offset:800
	scratch_load_b128 v[216:219], off, off offset:816
	; sched_group_barrier mask(0x00000008) size(1) SyncID(0)
	; sched_group_barrier mask(0x00000100) size(0) SyncID(0)
	;; [unrolled: 1-line block ×7, first 2 shown]
	s_waitcnt vmcnt(5)
	v_wmma_f32_16x16x16_f16 v[0:7], v[41:48], v[33:40], v[0:7]
	v_wmma_f32_16x16x16_f16 v[172:179], v[41:48], v[105:112], v[172:179]
	s_clause 0x1
	scratch_load_b128 v[41:44], off, off offset:1216
	scratch_load_b128 v[45:48], off, off offset:1232
	; sched_group_barrier mask(0x00000008) size(1) SyncID(0)
	; sched_group_barrier mask(0x00000100) size(0) SyncID(0)
	v_dual_mov_b32 v160, v7 :: v_dual_mov_b32 v159, v6
	v_dual_mov_b32 v158, v5 :: v_dual_mov_b32 v157, v4
	;; [unrolled: 1-line block ×4, first 2 shown]
	s_clause 0x1
	scratch_load_b128 v[0:3], off, off offset:832
	scratch_load_b128 v[4:7], off, off offset:848
	s_waitcnt vmcnt(2)
	v_wmma_f32_16x16x16_f16 v[8:15], v[41:48], v[25:32], v[8:15]
	v_wmma_f32_16x16x16_f16 v[70:77], v[41:48], v[81:88], v[70:77]
	ds_store_b128 v16, v[21:24] offset:16
	; sched_group_barrier mask(0x00000008) size(2) SyncID(0)
	; sched_group_barrier mask(0x00000008) size(1) SyncID(0)
	;; [unrolled: 1-line block ×3, first 2 shown]
	s_waitcnt vmcnt(0)
	v_wmma_f32_16x16x16_f16 v[0:7], v[41:48], v[33:40], v[0:7]
	ds_load_2addr_stride64_b64 v[21:24], v113 offset0:12 offset1:13
	v_wmma_f32_16x16x16_f16 v[212:219], v[41:48], v[105:112], v[212:219]
	s_clause 0x1
	scratch_load_b128 v[41:44], off, off offset:1184
	scratch_load_b128 v[45:48], off, off offset:1200
	s_clause 0x1
	scratch_store_b128 off, v[0:3], off offset:832
	scratch_store_b128 off, v[4:7], off offset:848
	s_clause 0x1
	scratch_load_b128 v[0:3], off, off offset:960
	scratch_load_b128 v[4:7], off, off offset:976
	; sched_group_barrier mask(0x00000008) size(1) SyncID(0)
	; sched_group_barrier mask(0x00000100) size(1) SyncID(0)
	;; [unrolled: 1-line block ×4, first 2 shown]
	s_waitcnt vmcnt(2)
	v_wmma_f32_16x16x16_f16 v[237:244], v[41:48], v[25:32], v[237:244]
	v_perm_b32 v25, v52, v123, 0x5040100
	v_perm_b32 v27, v52, v123, 0x7060302
	v_perm_b32 v26, v210, v60, 0x5040100
	s_waitcnt vmcnt(0)
	v_wmma_f32_16x16x16_f16 v[0:7], v[41:48], v[81:88], v[0:7]
	v_perm_b32 v28, v210, v60, 0x7060302
	s_clause 0x1
	scratch_load_b128 v[78:81], off, off offset:192
	scratch_load_b128 v[82:85], off, off offset:208
	; sched_group_barrier mask(0x00000008) size(2) SyncID(0)
	v_dual_mov_b32 v69, v7 :: v_dual_mov_b32 v68, v6
	v_dual_mov_b32 v67, v5 :: v_dual_mov_b32 v66, v4
	;; [unrolled: 1-line block ×4, first 2 shown]
	s_clause 0x1
	scratch_load_b128 v[0:3], off, off offset:896
	scratch_load_b128 v[4:7], off, off offset:912
	s_waitcnt vmcnt(0)
	v_wmma_f32_16x16x16_f16 v[0:7], v[41:48], v[33:40], v[0:7]
	ds_store_b128 v16, v[25:28] offset:32
	v_wmma_f32_16x16x16_f16 v[180:187], v[41:48], v[105:112], v[180:187]
	v_perm_b32 v25, v53, v124, 0x5040100
	v_perm_b32 v27, v53, v124, 0x7060302
	ds_load_2addr_stride64_b64 v[121:124], v49 offset0:34 offset1:35
	s_clause 0x3
	scratch_load_b128 v[49:52], off, off offset:1152
	scratch_load_b128 v[105:108], off, off offset:160
	;; [unrolled: 1-line block ×4, first 2 shown]
	v_perm_b32 v26, v211, v61, 0x5040100
	v_perm_b32 v28, v211, v61, 0x7060302
	v_dual_mov_b32 v33, v129 :: v_dual_mov_b32 v34, v130
	v_dual_mov_b32 v35, v97 :: v_dual_mov_b32 v36, v98
	;; [unrolled: 1-line block ×12, first 2 shown]
	s_clause 0x1
	scratch_load_b128 v[125:128], off, off offset:128
	scratch_load_b128 v[129:132], off, off offset:144
	ds_load_2addr_stride64_b64 v[232:235], v113 offset0:30 offset1:31
	; sched_group_barrier mask(0x00000008) size(1) SyncID(0)
	; sched_group_barrier mask(0x00000200) size(1) SyncID(0)
	;; [unrolled: 1-line block ×4, first 2 shown]
	s_waitcnt vmcnt(3)
	v_wmma_f32_16x16x16_f16 v[78:85], v[49:56], v[33:40], v[78:85]
	s_waitcnt vmcnt(2)
	v_wmma_f32_16x16x16_f16 v[105:112], v[49:56], v[97:104], v[105:112]
	v_wmma_f32_16x16x16_f16 v[141:148], v[49:56], v[41:48], v[141:148]
	;; [unrolled: 1-line block ×3, first 2 shown]
	ds_store_b128 v16, v[25:28] offset:48
	s_clause 0x3
	scratch_load_b128 v[49:52], off, off offset:1120
	scratch_load_b128 v[25:28], off, off
	scratch_load_b128 v[53:56], off, off offset:1136
	scratch_load_b128 v[29:32], off, off offset:16
	s_clause 0x1
	scratch_store_b128 off, v[78:81], off offset:192
	scratch_store_b128 off, v[82:85], off offset:208
	s_clause 0x1
	scratch_load_b128 v[78:81], off, off offset:32
	scratch_load_b128 v[82:85], off, off offset:48
	s_clause 0x1
	scratch_store_b128 off, v[141:144], off offset:352
	scratch_store_b128 off, v[145:148], off offset:368
	s_clause 0x1
	scratch_load_b128 v[141:144], off, off offset:288
	scratch_load_b128 v[145:148], off, off offset:304
	s_clause 0x1
	scratch_store_b128 off, v[200:203], off offset:320
	scratch_store_b128 off, v[204:207], off offset:336
	; sched_group_barrier mask(0x00000008) size(1) SyncID(0)
	; sched_group_barrier mask(0x00000100) size(0) SyncID(0)
	; sched_group_barrier mask(0x00000008) size(2) SyncID(0)
	; sched_group_barrier mask(0x00000008) size(1) SyncID(0)
	; sched_group_barrier mask(0x00000200) size(1) SyncID(0)
	s_waitcnt vmcnt(4)
	v_wmma_f32_16x16x16_f16 v[25:32], v[49:56], v[33:40], v[25:32]
	; sched_group_barrier mask(0x00000008) size(1) SyncID(0)
	s_clause 0x1
	scratch_store_b128 off, v[25:28], off
	scratch_store_b128 off, v[29:32], off offset:16
	ds_load_2addr_stride64_b64 v[25:28], v113 offset0:6 offset1:7
	s_waitcnt vmcnt(2)
	v_wmma_f32_16x16x16_f16 v[78:85], v[49:56], v[97:104], v[78:85]
	v_wmma_f32_16x16x16_f16 v[125:132], v[49:56], v[89:96], v[125:132]
	; sched_group_barrier mask(0x00000100) size(1) SyncID(0)
	; sched_group_barrier mask(0x00000008) size(1) SyncID(0)
	;; [unrolled: 1-line block ×3, first 2 shown]
	s_clause 0x1
	scratch_store_b128 off, v[78:81], off offset:32
	scratch_store_b128 off, v[82:85], off offset:48
	s_clause 0x1
	scratch_load_b128 v[78:81], off, off offset:64
	scratch_load_b128 v[82:85], off, off offset:80
	s_clause 0x1
	scratch_store_b128 off, v[125:128], off offset:128
	scratch_store_b128 off, v[129:132], off offset:144
	s_clause 0x1
	scratch_load_b128 v[125:128], off, off offset:96
	scratch_load_b128 v[129:132], off, off offset:112
	s_waitcnt vmcnt(2)
	v_wmma_f32_16x16x16_f16 v[78:85], v[49:56], v[41:48], v[78:85]
	s_clause 0x1
	scratch_load_b128 v[49:52], off, off offset:1088
	scratch_load_b128 v[53:56], off, off offset:1104
	; sched_group_barrier mask(0x00000008) size(2) SyncID(0)
	s_clause 0x1
	scratch_store_b128 off, v[78:81], off offset:64
	scratch_store_b128 off, v[82:85], off offset:80
	s_clause 0x1
	scratch_load_b128 v[78:81], off, off offset:640
	scratch_load_b128 v[82:85], off, off offset:656
	s_waitcnt vmcnt(2)
	v_wmma_f32_16x16x16_f16 v[245:252], v[49:56], v[33:40], v[245:252]
	v_wmma_f32_16x16x16_f16 v[125:132], v[49:56], v[97:104], v[125:132]
	; sched_group_barrier mask(0x00000008) size(1) SyncID(0)
	; sched_group_barrier mask(0x00000200) size(1) SyncID(0)
	;; [unrolled: 1-line block ×3, first 2 shown]
	s_clause 0x1
	scratch_store_b128 off, v[125:128], off offset:96
	scratch_store_b128 off, v[129:132], off offset:112
	ds_load_2addr_stride64_b64 v[125:128], v113 offset0:10 offset1:11
	v_wmma_f32_16x16x16_f16 v[141:148], v[49:56], v[41:48], v[141:148]
	ds_load_2addr_stride64_b64 v[129:132], v113 offset0:16 offset1:17
	; sched_group_barrier mask(0x00000100) size(1) SyncID(0)
	; sched_group_barrier mask(0x00000008) size(1) SyncID(0)
	;; [unrolled: 1-line block ×3, first 2 shown]
	s_clause 0x1
	scratch_store_b128 off, v[141:144], off offset:288
	scratch_store_b128 off, v[145:148], off offset:304
	s_clause 0x1
	scratch_load_b128 v[141:144], off, off offset:256
	scratch_load_b128 v[145:148], off, off offset:272
	s_waitcnt vmcnt(0)
	v_wmma_f32_16x16x16_f16 v[141:148], v[49:56], v[89:96], v[141:148]
	s_clause 0x1
	scratch_load_b128 v[49:52], off, off offset:1056
	scratch_load_b128 v[53:56], off, off offset:1072
	s_clause 0x1
	scratch_store_b128 off, v[141:144], off offset:256
	scratch_store_b128 off, v[145:148], off offset:272
	s_clause 0x1
	scratch_load_b128 v[141:144], off, off offset:576
	scratch_load_b128 v[145:148], off, off offset:592
	s_waitcnt vmcnt(0)
	v_wmma_f32_16x16x16_f16 v[141:148], v[49:56], v[33:40], v[141:148]
	; sched_group_barrier mask(0x00000008) size(2) SyncID(0)
	s_clause 0x1
	scratch_store_b128 off, v[141:144], off offset:576
	scratch_store_b128 off, v[145:148], off offset:592
	s_clause 0x1
	scratch_load_b128 v[141:144], off, off offset:608
	scratch_load_b128 v[145:148], off, off offset:624
	s_waitcnt vmcnt(0)
	v_wmma_f32_16x16x16_f16 v[141:148], v[49:56], v[97:104], v[141:148]
	; sched_group_barrier mask(0x00000008) size(1) SyncID(0)
	; sched_group_barrier mask(0x00000200) size(1) SyncID(0)
	s_clause 0x1
	scratch_store_b128 off, v[141:144], off offset:608
	scratch_store_b128 off, v[145:148], off offset:624
	s_clause 0x1
	scratch_load_b128 v[141:144], off, off offset:672
	scratch_load_b128 v[145:148], off, off offset:688
	s_waitcnt vmcnt(0)
	v_wmma_f32_16x16x16_f16 v[141:148], v[49:56], v[41:48], v[141:148]
	ds_load_2addr_stride64_b64 v[29:32], v113 offset0:14 offset1:15
	; sched_group_barrier mask(0x00000008) size(1) SyncID(0)
	; sched_group_barrier mask(0x00000100) size(1) SyncID(0)
	s_clause 0x1
	scratch_store_b128 off, v[141:144], off offset:672
	scratch_store_b128 off, v[145:148], off offset:688
	s_clause 0x1
	scratch_load_b128 v[141:144], off, off offset:704
	scratch_load_b128 v[145:148], off, off offset:720
	s_waitcnt vmcnt(0)
	v_wmma_f32_16x16x16_f16 v[141:148], v[49:56], v[89:96], v[141:148]
	s_clause 0x1
	scratch_load_b128 v[49:52], off, off offset:864
	scratch_load_b128 v[53:56], off, off offset:880
	; sched_group_barrier mask(0x00000008) size(1) SyncID(0)
	; sched_group_barrier mask(0x00000100) size(0) SyncID(0)
	s_clause 0x1
	scratch_store_b128 off, v[141:144], off offset:704
	scratch_store_b128 off, v[145:148], off offset:720
	s_clause 0x1
	scratch_load_b128 v[141:144], off, off offset:384
	scratch_load_b128 v[145:148], off, off offset:400
	s_waitcnt vmcnt(2)
	v_wmma_f32_16x16x16_f16 v[78:85], v[49:56], v[33:40], v[78:85]
	scratch_store_b128 off, v[78:81], off offset:640 ; 16-byte Folded Spill
	s_waitcnt vmcnt(0)
	v_wmma_f32_16x16x16_f16 v[141:148], v[49:56], v[97:104], v[141:148]
	v_wmma_f32_16x16x16_f16 v[161:168], v[49:56], v[41:48], v[161:168]
	;; [unrolled: 1-line block ×3, first 2 shown]
	s_clause 0x1
	scratch_load_b128 v[49:52], off, off offset:1024
	scratch_load_b128 v[53:56], off, off offset:1040
	s_clause 0x2
	scratch_store_b128 off, v[141:144], off offset:384
	scratch_store_b128 off, v[161:164], off offset:544
	;; [unrolled: 1-line block ×3, first 2 shown]
	ds_load_b128 v[161:164], v57 offset:512
	scratch_store_b128 off, v[145:148], off offset:400 ; 16-byte Folded Spill
	ds_load_2addr_stride64_b64 v[141:144], v113 offset0:26 offset1:27
	s_clause 0x2
	scratch_store_b128 off, v[82:85], off offset:656
	scratch_store_b128 off, v[188:191], off offset:512
	;; [unrolled: 1-line block ×3, first 2 shown]
	; sched_group_barrier mask(0x00000008) size(2) SyncID(0)
	; sched_group_barrier mask(0x00000008) size(1) SyncID(0)
	;; [unrolled: 1-line block ×5, first 2 shown]
	s_waitcnt vmcnt(0)
	v_wmma_f32_16x16x16_f16 v[133:140], v[49:56], v[33:40], v[133:140]
	v_wmma_f32_16x16x16_f16 v[220:227], v[49:56], v[97:104], v[220:227]
	;; [unrolled: 1-line block ×4, first 2 shown]
	s_clause 0x1
	scratch_load_b128 v[49:52], off, off offset:928
	scratch_load_b128 v[53:56], off, off offset:944
	s_clause 0x5
	scratch_store_b128 off, v[133:136], off offset:448
	scratch_store_b128 off, v[220:223], off offset:864
	;; [unrolled: 1-line block ×6, first 2 shown]
	ds_load_b128 v[153:156], v57 offset:1024
	ds_load_b128 v[157:160], v57 offset:5120
	;; [unrolled: 1-line block ×4, first 2 shown]
	ds_load_2addr_stride64_b64 v[133:136], v113 offset0:24 offset1:25
	ds_load_2addr_stride64_b64 v[137:140], v113 offset0:18 offset1:19
	; sched_group_barrier mask(0x00000008) size(1) SyncID(0)
	; sched_group_barrier mask(0x00000100) size(0) SyncID(0)
	;; [unrolled: 1-line block ×5, first 2 shown]
	s_waitcnt vmcnt(0)
	v_wmma_f32_16x16x16_f16 v[8:15], v[49:56], v[33:40], v[8:15]
	ds_load_b128 v[165:168], v57 offset:4608
	v_wmma_f32_16x16x16_f16 v[70:77], v[49:56], v[97:104], v[70:77]
	v_wmma_f32_16x16x16_f16 v[212:219], v[49:56], v[89:96], v[212:219]
	; sched_group_barrier mask(0x00000008) size(1) SyncID(0)
	; sched_group_barrier mask(0x00000100) size(1) SyncID(0)
	;; [unrolled: 1-line block ×4, first 2 shown]
	s_clause 0x1
	scratch_store_b128 off, v[8:11], off offset:736
	scratch_store_b128 off, v[12:15], off offset:752
	s_clause 0x1
	scratch_load_b128 v[8:11], off, off offset:832
	scratch_load_b128 v[12:15], off, off offset:848
	s_clause 0x3
	scratch_store_b128 off, v[70:73], off offset:480
	scratch_store_b128 off, v[74:77], off offset:496
	;; [unrolled: 1-line block ×4, first 2 shown]
	s_waitcnt vmcnt(0)
	v_wmma_f32_16x16x16_f16 v[8:15], v[49:56], v[41:48], v[8:15]
	s_clause 0x1
	scratch_load_b128 v[49:52], off, off offset:992
	scratch_load_b128 v[53:56], off, off offset:1008
	; sched_group_barrier mask(0x00000008) size(2) SyncID(0)
	s_clause 0x1
	scratch_store_b128 off, v[8:11], off offset:832
	scratch_store_b128 off, v[12:15], off offset:848
	s_waitcnt vmcnt(0)
	v_wmma_f32_16x16x16_f16 v[0:7], v[49:56], v[41:48], v[0:7]
	v_wmma_f32_16x16x16_f16 v[180:187], v[49:56], v[89:96], v[180:187]
	;; [unrolled: 1-line block ×3, first 2 shown]
	ds_load_b128 v[41:44], v57 offset:1536
	ds_load_b128 v[45:48], v57 offset:5632
	s_clause 0x1
	scratch_store_b128 off, v[0:3], off offset:896
	scratch_store_b128 off, v[4:7], off offset:912
	ds_load_b128 v[0:3], v57 offset:3072
	ds_load_b128 v[4:7], v57 offset:7168
	s_clause 0x1
	scratch_store_b128 off, v[180:183], off offset:224
	scratch_store_b128 off, v[184:187], off offset:240
	ds_load_b128 v[180:183], v57 offset:2048
	ds_load_b128 v[184:187], v57 offset:6144
	ds_load_2addr_stride64_b64 v[33:36], v113 offset0:20 offset1:21
	ds_load_2addr_stride64_b64 v[37:40], v113 offset0:28 offset1:29
	v_wmma_f32_16x16x16_f16 v[62:69], v[49:56], v[97:104], v[62:69]
	s_clause 0x3
	scratch_store_b128 off, v[237:240], off offset:928
	scratch_store_b128 off, v[241:244], off offset:944
	scratch_store_b128 off, v[62:65], off offset:960
	scratch_store_b128 off, v[66:69], off offset:976
	s_waitcnt lgkmcnt(4)
	s_clause 0x1
	scratch_store_b128 off, v[0:3], off offset:1216
	scratch_store_b128 off, v[4:7], off offset:1232
	ds_load_b128 v[0:3], v57 offset:3584
	ds_load_b128 v[4:7], v57 offset:7680
	s_waitcnt lgkmcnt(0)
	s_clause 0x1
	scratch_store_b128 off, v[0:3], off offset:1248
	scratch_store_b128 off, v[4:7], off offset:1264
	ds_load_b128 v[0:3], v57 offset:8192
	ds_load_b128 v[4:7], v57 offset:12288
	;; [unrolled: 6-line block ×9, first 2 shown]
	s_waitcnt lgkmcnt(0)
	s_clause 0x1
	scratch_store_b128 off, v[0:3], off offset:768
	scratch_store_b128 off, v[4:7], off offset:784
	; sched_barrier mask(0x00000000)
	v_mov_b32_e32 v243, v24
	v_dual_mov_b32 v241, v22 :: v_dual_mov_b32 v240, v21
	v_dual_mov_b32 v237, v18 :: v_dual_mov_b32 v236, v17
	s_delay_alu instid0(VALU_DEP_2) | instskip(SKIP_1) | instid1(VALU_DEP_3)
	v_dual_mov_b32 v0, v196 :: v_dual_mov_b32 v7, v241
	v_mov_b32_e32 v1, v197
	v_dual_mov_b32 v3, v237 :: v_dual_mov_b32 v2, v236
	v_dual_mov_b32 v4, v149 :: v_dual_mov_b32 v5, v150
	v_mov_b32_e32 v6, v240
	v_mov_b32_e32 v56, v7
	s_delay_alu instid0(VALU_DEP_3) | instskip(NEXT) | instid1(VALU_DEP_3)
	v_dual_mov_b32 v52, v3 :: v_dual_mov_b32 v53, v4
	v_dual_mov_b32 v54, v5 :: v_dual_mov_b32 v55, v6
	;; [unrolled: 1-line block ×5, first 2 shown]
	v_mov_b32_e32 v5, v30
	v_mov_b32_e32 v7, v32
	s_delay_alu instid0(VALU_DEP_3) | instskip(SKIP_1) | instid1(VALU_DEP_4)
	v_dual_mov_b32 v190, v0 :: v_dual_mov_b32 v191, v1
	v_dual_mov_b32 v0, v123 :: v_dual_mov_b32 v1, v124
	;; [unrolled: 1-line block ×10, first 2 shown]
	v_mov_b32_e32 v32, v7
	s_delay_alu instid0(VALU_DEP_4)
	v_dual_mov_b32 v210, v39 :: v_dual_mov_b32 v209, v38
	v_dual_mov_b32 v208, v37 :: v_dual_mov_b32 v207, v36
	;; [unrolled: 1-line block ×3, first 2 shown]
	v_mov_b32_e32 v204, v33
	v_dual_mov_b32 v33, v49 :: v_dual_mov_b32 v242, v23
	v_dual_mov_b32 v239, v20 :: v_dual_mov_b32 v238, v19
	;; [unrolled: 1-line block ×6, first 2 shown]
	v_mov_b32_e32 v25, v0
	s_clause 0x1
	scratch_load_b128 v[113:116], off, off offset:192
	scratch_load_b128 v[0:3], off, off offset:1440
	v_dual_mov_b32 v34, v50 :: v_dual_mov_b32 v35, v51
	v_dual_mov_b32 v36, v52 :: v_dual_mov_b32 v37, v53
	;; [unrolled: 1-line block ×3, first 2 shown]
	v_mov_b32_e32 v40, v56
	s_clause 0xd
	scratch_load_b128 v[89:92], off, off offset:352
	scratch_load_b128 v[196:199], off, off offset:320
	scratch_load_b128 v[16:19], off, off
	scratch_load_b128 v[49:52], off, off offset:32
	scratch_load_b128 v[65:68], off, off offset:64
	;; [unrolled: 1-line block ×11, first 2 shown]
	v_dual_mov_b32 v240, v151 :: v_dual_mov_b32 v241, v152
	v_dual_mov_b32 v188, v121 :: v_dual_mov_b32 v189, v122
	;; [unrolled: 1-line block ×11, first 2 shown]
	s_clause 0x3
	scratch_load_b128 v[145:148], off, off offset:96
	scratch_load_b128 v[137:140], off, off offset:256
	;; [unrolled: 1-line block ×4, first 2 shown]
	s_clause 0x1
	scratch_store_b128 off, v[161:164], off offset:1408
	scratch_store_b128 off, v[165:168], off offset:1424
	v_mov_b32_e32 v64, v32
	scratch_store_b128 off, v[153:156], off offset:1376 ; 16-byte Folded Spill
	v_dual_mov_b32 v63, v31 :: v_dual_mov_b32 v62, v30
	v_dual_mov_b32 v61, v29 :: v_dual_mov_b32 v60, v28
	v_dual_mov_b32 v59, v27 :: v_dual_mov_b32 v58, v26
	v_mov_b32_e32 v57, v25
	s_clause 0x3
	scratch_load_b128 v[81:84], off, off offset:672
	scratch_load_b128 v[8:11], off, off offset:384
	;; [unrolled: 1-line block ×4, first 2 shown]
	s_clause 0x1
	scratch_store_b128 off, v[157:160], off offset:1392
	scratch_store_b128 off, v[180:183], off offset:1280
	s_clause 0x2
	scratch_load_b128 v[212:215], off, off offset:640
	scratch_load_b128 v[216:219], off, off offset:656
	;; [unrolled: 1-line block ×3, first 2 shown]
	scratch_store_b128 off, v[184:187], off offset:1296 ; 16-byte Folded Spill
	scratch_load_b128 v[101:104], off, off offset:720 ; 16-byte Folded Reload
	s_clause 0x1
	scratch_store_b128 off, v[220:223], off offset:1312
	scratch_store_b128 off, v[224:227], off offset:1328
	; sched_group_barrier mask(0x00000100) size(1) SyncID(0)
	s_waitcnt vmcnt(18)
	v_wmma_f32_16x16x16_f16 v[113:120], v[0:7], v[33:40], v[113:120]
	v_wmma_f32_16x16x16_f16 v[105:112], v[0:7], v[236:243], v[105:112]
	s_waitcnt vmcnt(17)
	v_wmma_f32_16x16x16_f16 v[89:96], v[0:7], v[188:195], v[89:96]
	s_waitcnt vmcnt(16)
	;; [unrolled: 2-line block ×6, first 2 shown]
	v_wmma_f32_16x16x16_f16 v[73:80], v[161:168], v[25:32], v[73:80]
	s_clause 0x1
	scratch_load_b128 v[164:167], off, off offset:288
	scratch_load_b128 v[168:171], off, off offset:304
	v_mov_b32_e32 v0, v41
	v_wmma_f32_16x16x16_f16 v[245:252], v[153:160], v[33:40], v[245:252]
	v_dual_mov_b32 v1, v42 :: v_dual_mov_b32 v2, v43
	v_dual_mov_b32 v3, v44 :: v_dual_mov_b32 v4, v45
	;; [unrolled: 1-line block ×3, first 2 shown]
	v_mov_b32_e32 v7, v48
	s_clause 0x1
	scratch_load_b128 v[41:44], off, off offset:608
	scratch_load_b128 v[45:48], off, off offset:624
	s_clause 0x1
	scratch_store_b128 off, v[0:3], off offset:1344
	scratch_store_b128 off, v[4:7], off offset:1360
	; sched_group_barrier mask(0x00000008) size(5) SyncID(0)
	; sched_group_barrier mask(0x00000100) size(1) SyncID(0)
	s_waitcnt vmcnt(13)
	v_wmma_f32_16x16x16_f16 v[145:152], v[153:160], v[236:243], v[145:152]
	s_waitcnt vmcnt(12)
	v_wmma_f32_16x16x16_f16 v[137:144], v[153:160], v[25:32], v[137:144]
	s_clause 0x1
	scratch_load_b128 v[24:27], off, off offset:576
	scratch_load_b128 v[28:31], off, off offset:592
	; sched_group_barrier mask(0x00000008) size(5) SyncID(0)
	; sched_group_barrier mask(0x00000100) size(1) SyncID(0)
	s_waitcnt vmcnt(11)
	v_wmma_f32_16x16x16_f16 v[81:88], v[0:7], v[188:195], v[81:88]
	s_waitcnt vmcnt(4)
	v_wmma_f32_16x16x16_f16 v[164:171], v[153:160], v[188:195], v[164:171]
	s_clause 0x1
	scratch_load_b128 v[153:156], off, off offset:544
	scratch_load_b128 v[157:160], off, off offset:560
	s_waitcnt vmcnt(4)
	v_wmma_f32_16x16x16_f16 v[41:48], v[0:7], v[236:243], v[41:48]
	s_waitcnt vmcnt(2)
	v_wmma_f32_16x16x16_f16 v[24:31], v[0:7], v[33:40], v[24:31]
	v_wmma_f32_16x16x16_f16 v[8:15], v[180:187], v[236:243], v[8:15]
	v_wmma_f32_16x16x16_f16 v[212:219], v[180:187], v[33:40], v[212:219]
	v_wmma_f32_16x16x16_f16 v[97:104], v[0:7], v[57:64], v[97:104]
	s_clause 0x1
	scratch_load_b128 v[0:3], off, off offset:1216
	scratch_load_b128 v[4:7], off, off offset:1232
	s_clause 0x1
	scratch_store_b128 off, v[8:11], off offset:384
	scratch_store_b128 off, v[12:15], off offset:400
	s_clause 0x1
	scratch_load_b128 v[8:11], off, off offset:512
	scratch_load_b128 v[12:15], off, off offset:528
	; sched_group_barrier mask(0x00000008) size(5) SyncID(0)
	; sched_group_barrier mask(0x00000100) size(1) SyncID(0)
	s_waitcnt vmcnt(4)
	v_wmma_f32_16x16x16_f16 v[153:160], v[180:187], v[188:195], v[153:160]
	s_clause 0x1
	scratch_store_b128 off, v[153:156], off offset:544
	scratch_store_b128 off, v[157:160], off offset:560
	v_dual_mov_b32 v160, v64 :: v_dual_mov_b32 v159, v63
	v_dual_mov_b32 v158, v62 :: v_dual_mov_b32 v157, v61
	;; [unrolled: 1-line block ×4, first 2 shown]
	s_clause 0x1
	scratch_load_b128 v[57:60], off, off offset:832
	scratch_load_b128 v[61:64], off, off offset:848
	s_waitcnt vmcnt(2)
	v_wmma_f32_16x16x16_f16 v[8:15], v[180:187], v[153:160], v[8:15]
	s_clause 0x1
	scratch_load_b128 v[180:183], off, off offset:448
	scratch_load_b128 v[184:187], off, off offset:464
	v_wmma_f32_16x16x16_f16 v[172:179], v[220:227], v[153:160], v[172:179]
	; sched_group_barrier mask(0x00000008) size(5) SyncID(0)
	; sched_group_barrier mask(0x00000100) size(1) SyncID(0)
	s_clause 0x1
	scratch_store_b128 off, v[8:11], off offset:512
	scratch_store_b128 off, v[12:15], off offset:528
	s_clause 0x1
	scratch_load_b128 v[8:11], off, off offset:800
	scratch_load_b128 v[12:15], off, off offset:816
	s_waitcnt vmcnt(2)
	v_wmma_f32_16x16x16_f16 v[180:187], v[220:227], v[33:40], v[180:187]
	s_clause 0x1
	scratch_store_b128 off, v[180:183], off offset:448
	scratch_store_b128 off, v[184:187], off offset:464
	s_clause 0x1
	scratch_load_b128 v[180:183], off, off offset:864
	scratch_load_b128 v[184:187], off, off offset:880
	s_waitcnt vmcnt(0)
	v_wmma_f32_16x16x16_f16 v[180:187], v[220:227], v[236:243], v[180:187]
	;; [unrolled: 8-line block ×3, first 2 shown]
	s_clause 0x1
	scratch_load_b128 v[220:223], off, off offset:928
	scratch_load_b128 v[224:227], off, off offset:944
	s_clause 0x1
	scratch_store_b128 off, v[180:183], off offset:416
	scratch_store_b128 off, v[184:187], off offset:432
	s_clause 0x1
	scratch_load_b128 v[180:183], off, off offset:736
	scratch_load_b128 v[184:187], off, off offset:752
	s_waitcnt vmcnt(0)
	v_wmma_f32_16x16x16_f16 v[180:187], v[0:7], v[33:40], v[180:187]
	v_wmma_f32_16x16x16_f16 v[57:64], v[0:7], v[188:195], v[57:64]
	v_wmma_f32_16x16x16_f16 v[8:15], v[0:7], v[153:160], v[8:15]
	s_clause 0x3
	scratch_store_b128 off, v[33:36], off offset:1504
	scratch_store_b128 off, v[37:40], off offset:1520
	;; [unrolled: 1-line block ×4, first 2 shown]
	s_clause 0x1
	scratch_load_b128 v[180:183], off, off offset:480
	scratch_load_b128 v[184:187], off, off offset:496
	s_clause 0x1
	scratch_store_b128 off, v[8:11], off offset:800
	scratch_store_b128 off, v[12:15], off offset:816
	v_dual_mov_b32 v8, v153 :: v_dual_mov_b32 v9, v154
	v_dual_mov_b32 v10, v155 :: v_dual_mov_b32 v11, v156
	;; [unrolled: 1-line block ×4, first 2 shown]
	s_clause 0x1
	scratch_load_b128 v[153:156], off, off offset:224
	scratch_load_b128 v[157:160], off, off offset:240
	s_clause 0x1
	scratch_store_b128 off, v[8:11], off offset:1472
	scratch_store_b128 off, v[12:15], off offset:1488
	; sched_group_barrier mask(0x00000008) size(5) SyncID(0)
	; sched_group_barrier mask(0x00000100) size(1) SyncID(0)
	s_waitcnt vmcnt(2)
	v_wmma_f32_16x16x16_f16 v[180:187], v[0:7], v[236:243], v[180:187]
	s_clause 0x1
	scratch_load_b128 v[0:3], off, off offset:1248
	scratch_load_b128 v[4:7], off, off offset:1264
	s_waitcnt vmcnt(0)
	v_wmma_f32_16x16x16_f16 v[220:227], v[0:7], v[33:40], v[220:227]
	s_clause 0x1
	scratch_store_b128 off, v[220:223], off offset:928
	scratch_store_b128 off, v[224:227], off offset:944
	s_clause 0x1
	scratch_load_b128 v[220:223], off, off offset:960
	scratch_load_b128 v[224:227], off, off offset:976
	s_waitcnt vmcnt(0)
	v_wmma_f32_16x16x16_f16 v[220:227], v[0:7], v[236:243], v[220:227]
	v_wmma_f32_16x16x16_f16 v[153:160], v[0:7], v[8:15], v[153:160]
	s_clause 0x1
	scratch_load_b128 v[8:11], off, off offset:1120
	scratch_load_b128 v[12:15], off, off offset:1136
	; sched_group_barrier mask(0x00000008) size(5) SyncID(0)
	; sched_group_barrier mask(0x00000100) size(1) SyncID(0)
	s_clause 0x1
	scratch_store_b128 off, v[220:223], off offset:960
	scratch_store_b128 off, v[224:227], off offset:976
	s_clause 0x1
	scratch_load_b128 v[220:223], off, off offset:896
	scratch_load_b128 v[224:227], off, off offset:912
	s_clause 0x1
	scratch_store_b128 off, v[153:156], off offset:224
	scratch_store_b128 off, v[157:160], off offset:240
	s_clause 0x1
	scratch_load_b128 v[153:156], off, off offset:448
	scratch_load_b128 v[157:160], off, off offset:464
	s_waitcnt vmcnt(2)
	v_wmma_f32_16x16x16_f16 v[220:227], v[0:7], v[188:195], v[220:227]
	s_clause 0x1
	scratch_load_b128 v[0:3], off, off offset:1184
	scratch_load_b128 v[4:7], off, off offset:1200
	s_waitcnt vmcnt(0)
	v_wmma_f32_16x16x16_f16 v[113:120], v[0:7], v[121:128], v[113:120]
	v_wmma_f32_16x16x16_f16 v[105:112], v[0:7], v[204:211], v[105:112]
	;; [unrolled: 1-line block ×4, first 2 shown]
	s_clause 0x1
	scratch_load_b128 v[0:3], off, off offset:1152
	scratch_load_b128 v[4:7], off, off offset:1168
	s_clause 0x1
	scratch_store_b128 off, v[105:108], off offset:160
	scratch_store_b128 off, v[109:112], off offset:176
	v_dual_mov_b32 v105, v196 :: v_dual_mov_b32 v106, v197
	v_dual_mov_b32 v107, v198 :: v_dual_mov_b32 v108, v199
	;; [unrolled: 1-line block ×4, first 2 shown]
	s_clause 0x1
	scratch_store_b128 off, v[113:116], off offset:192
	scratch_store_b128 off, v[117:120], off offset:208
	v_dual_mov_b32 v120, v96 :: v_dual_mov_b32 v119, v95
	v_dual_mov_b32 v118, v94 :: v_dual_mov_b32 v117, v93
	;; [unrolled: 1-line block ×4, first 2 shown]
	; sched_group_barrier mask(0x00000008) size(5) SyncID(0)
	; sched_group_barrier mask(0x00000100) size(1) SyncID(0)
	s_waitcnt vmcnt(0)
	v_wmma_f32_16x16x16_f16 v[16:23], v[0:7], v[121:128], v[16:23]
	v_wmma_f32_16x16x16_f16 v[49:56], v[0:7], v[204:211], v[49:56]
	;; [unrolled: 1-line block ×8, first 2 shown]
	s_clause 0x1
	scratch_load_b128 v[8:11], off, off offset:1088
	scratch_load_b128 v[12:15], off, off offset:1104
	v_dual_mov_b32 v39, v23 :: v_dual_mov_b32 v38, v22
	v_dual_mov_b32 v37, v21 :: v_dual_mov_b32 v36, v20
	;; [unrolled: 1-line block ×4, first 2 shown]
	s_clause 0x1
	scratch_load_b128 v[16:19], off, off offset:1056
	scratch_load_b128 v[20:23], off, off offset:1072
	v_dual_mov_b32 v0, v73 :: v_dual_mov_b32 v1, v74
	v_dual_mov_b32 v2, v75 :: v_dual_mov_b32 v3, v76
	;; [unrolled: 1-line block ×4, first 2 shown]
	s_clause 0x1
	scratch_load_b128 v[73:76], off, off offset:864
	scratch_load_b128 v[77:80], off, off offset:880
	s_clause 0x1
	scratch_store_b128 off, v[145:148], off offset:96
	scratch_store_b128 off, v[149:152], off offset:112
	v_dual_mov_b32 v145, v164 :: v_dual_mov_b32 v146, v165
	v_dual_mov_b32 v147, v166 :: v_dual_mov_b32 v148, v167
	;; [unrolled: 1-line block ×8, first 2 shown]
	; sched_group_barrier mask(0x00000008) size(5) SyncID(0)
	; sched_group_barrier mask(0x00000100) size(1) SyncID(0)
	s_waitcnt vmcnt(4)
	v_wmma_f32_16x16x16_f16 v[24:31], v[8:15], v[121:128], v[24:31]
	v_wmma_f32_16x16x16_f16 v[41:48], v[8:15], v[204:211], v[41:48]
	;; [unrolled: 1-line block ×4, first 2 shown]
	s_clause 0x1
	scratch_load_b128 v[8:11], off, off offset:384
	scratch_load_b128 v[12:15], off, off offset:400
	s_clause 0x3
	scratch_store_b128 off, v[41:44], off offset:608
	scratch_store_b128 off, v[81:84], off offset:672
	;; [unrolled: 1-line block ×4, first 2 shown]
	s_clause 0x3
	scratch_load_b128 v[81:84], off, off offset:544
	scratch_load_b128 v[40:43], off, off offset:512
	;; [unrolled: 1-line block ×4, first 2 shown]
	s_waitcnt vmcnt(8)
	v_wmma_f32_16x16x16_f16 v[212:219], v[16:23], v[121:128], v[212:219]
	s_clause 0x1
	scratch_store_b128 off, v[24:27], off offset:576
	scratch_store_b128 off, v[28:31], off offset:592
	s_clause 0x1
	scratch_load_b128 v[24:27], off, off offset:736
	scratch_load_b128 v[28:31], off, off offset:752
	v_mov_b32_e32 v137, v212
	s_clause 0x1
	scratch_store_b128 off, v[97:100], off offset:704
	scratch_store_b128 off, v[101:104], off offset:720
	v_dual_mov_b32 v138, v213 :: v_dual_mov_b32 v139, v214
	v_dual_mov_b32 v140, v215 :: v_dual_mov_b32 v141, v216
	;; [unrolled: 1-line block ×3, first 2 shown]
	v_mov_b32_e32 v144, v219
	; sched_group_barrier mask(0x00000008) size(5) SyncID(0)
	; sched_group_barrier mask(0x00000100) size(1) SyncID(0)
	s_waitcnt vmcnt(6)
	v_wmma_f32_16x16x16_f16 v[8:15], v[16:23], v[204:211], v[8:15]
	; sched_group_barrier mask(0x00000008) size(5) SyncID(0)
	; sched_group_barrier mask(0x00000100) size(1) SyncID(0)
	s_waitcnt vmcnt(3)
	v_wmma_f32_16x16x16_f16 v[81:88], v[16:23], v[129:136], v[81:88]
	s_waitcnt vmcnt(2)
	v_wmma_f32_16x16x16_f16 v[40:47], v[16:23], v[228:235], v[40:47]
	s_clause 0x1
	scratch_load_b128 v[16:19], off, off offset:1024
	scratch_load_b128 v[20:23], off, off offset:1040
	s_waitcnt vmcnt(0)
	v_wmma_f32_16x16x16_f16 v[73:80], v[16:23], v[204:211], v[73:80]
	v_wmma_f32_16x16x16_f16 v[153:160], v[16:23], v[121:128], v[153:160]
	s_clause 0x3
	scratch_store_b128 off, v[204:207], off offset:1568
	scratch_store_b128 off, v[208:211], off offset:1584
	;; [unrolled: 1-line block ×4, first 2 shown]
	s_clause 0x1
	scratch_load_b128 v[73:76], off, off offset:416
	scratch_load_b128 v[77:80], off, off offset:432
	s_waitcnt vmcnt(0)
	v_wmma_f32_16x16x16_f16 v[73:80], v[16:23], v[129:136], v[73:80]
	v_wmma_f32_16x16x16_f16 v[172:179], v[16:23], v[228:235], v[172:179]
	s_clause 0x1
	scratch_load_b128 v[16:19], off, off offset:992
	scratch_load_b128 v[20:23], off, off offset:1008
	; sched_group_barrier mask(0x00000008) size(5) SyncID(0)
	; sched_group_barrier mask(0x00000100) size(1) SyncID(0)
	s_clause 0x1
	scratch_store_b128 off, v[73:76], off offset:416
	scratch_store_b128 off, v[77:80], off offset:432
	s_waitcnt vmcnt(0)
	v_wmma_f32_16x16x16_f16 v[57:64], v[16:23], v[129:136], v[57:64]
	v_wmma_f32_16x16x16_f16 v[180:187], v[16:23], v[204:211], v[180:187]
	;; [unrolled: 1-line block ×3, first 2 shown]
	s_delay_alu instid0(VALU_DEP_3) | instskip(NEXT) | instid1(VALU_DEP_4)
	v_dual_mov_b32 v203, v64 :: v_dual_mov_b32 v202, v63
	v_dual_mov_b32 v201, v62 :: v_dual_mov_b32 v200, v61
	;; [unrolled: 1-line block ×4, first 2 shown]
	s_clause 0x1
	scratch_load_b128 v[57:60], off, off offset:800
	scratch_load_b128 v[61:64], off, off offset:816
	v_dual_mov_b32 v89, v180 :: v_dual_mov_b32 v90, v181
	v_dual_mov_b32 v91, v182 :: v_dual_mov_b32 v92, v183
	;; [unrolled: 1-line block ×4, first 2 shown]
	s_clause 0x1
	scratch_load_b128 v[180:183], off, off offset:960
	scratch_load_b128 v[184:187], off, off offset:976
	s_waitcnt vmcnt(2)
	v_wmma_f32_16x16x16_f16 v[57:64], v[16:23], v[228:235], v[57:64]
	s_clause 0x1
	scratch_load_b128 v[16:19], off, off offset:928
	scratch_load_b128 v[20:23], off, off offset:944
	s_clause 0x3
	scratch_store_b128 off, v[228:231], off offset:1536
	scratch_store_b128 off, v[232:235], off offset:1552
	;; [unrolled: 1-line block ×4, first 2 shown]
	s_clause 0x1
	scratch_load_b128 v[57:60], off, off offset:768
	scratch_load_b128 v[61:64], off, off offset:784
	; sched_group_barrier mask(0x00000008) size(5) SyncID(0)
	s_waitcnt vmcnt(0)
	v_nop
	v_wmma_f32_16x16x16_f16 v[220:227], v[57:64], v[129:136], v[220:227]
	v_wmma_f32_16x16x16_f16 v[180:187], v[57:64], v[204:211], v[180:187]
	;; [unrolled: 1-line block ×3, first 2 shown]
	s_clause 0x1
	scratch_store_b128 off, v[220:223], off offset:896
	scratch_store_b128 off, v[224:227], off offset:912
	s_clause 0x1
	scratch_load_b128 v[220:223], off, off offset:224
	scratch_load_b128 v[224:227], off, off offset:240
	s_clause 0x1
	scratch_store_b128 off, v[180:183], off offset:960
	scratch_store_b128 off, v[184:187], off offset:976
	s_waitcnt vmcnt(0) lgkmcnt(0)
	s_waitcnt_vscnt null, 0x0
	s_barrier
	v_wmma_f32_16x16x16_f16 v[220:227], v[57:64], v[228:235], v[220:227]
	; sched_barrier mask(0x00000000)
	s_clause 0x9
	scratch_load_b128 v[204:207], off, off offset:192
	scratch_load_b128 v[73:76], off, off offset:1504
	;; [unrolled: 1-line block ×10, first 2 shown]
	v_dual_mov_b32 v57, v236 :: v_dual_mov_b32 v58, v237
	v_dual_mov_b32 v59, v238 :: v_dual_mov_b32 v60, v239
	;; [unrolled: 1-line block ×12, first 2 shown]
	s_clause 0x1
	scratch_load_b128 v[81:84], off, off offset:864
	scratch_load_b128 v[85:88], off, off offset:880
	s_waitcnt vmcnt(4)
	v_wmma_f32_16x16x16_f16 v[204:211], v[97:104], v[73:80], v[204:211]
	s_waitcnt vmcnt(3)
	v_wmma_f32_16x16x16_f16 v[228:235], v[97:104], v[236:243], v[228:235]
	v_wmma_f32_16x16x16_f16 v[113:120], v[97:104], v[188:195], v[113:120]
	s_waitcnt vmcnt(2)
	v_wmma_f32_16x16x16_f16 v[105:112], v[97:104], v[212:219], v[105:112]
	s_clause 0x1
	scratch_load_b128 v[97:100], off, off offset:1408
	scratch_load_b128 v[101:104], off, off offset:1424
	s_clause 0x3
	scratch_store_b128 off, v[113:116], off offset:352
	scratch_store_b128 off, v[105:108], off offset:320
	;; [unrolled: 1-line block ×4, first 2 shown]
	s_clause 0x1
	scratch_load_b128 v[107:110], off, off offset:672
	scratch_load_b128 v[111:114], off, off offset:688
	s_waitcnt vmcnt(2)
	v_wmma_f32_16x16x16_f16 v[49:56], v[97:104], v[236:243], v[49:56]
	v_wmma_f32_16x16x16_f16 v[0:7], v[97:104], v[212:219], v[0:7]
	;; [unrolled: 1-line block ×4, first 2 shown]
	scratch_load_b128 v[97:100], off, off offset:704 ; 16-byte Folded Reload
	s_clause 0x3
	scratch_store_b128 off, v[49:52], off offset:32
	scratch_store_b128 off, v[0:3], off offset:128
	scratch_store_b128 off, v[53:56], off offset:48
	scratch_store_b128 off, v[4:7], off offset:144
	s_clause 0x3
	scratch_load_b128 v[0:3], off, off offset:1376
	scratch_load_b128 v[49:52], off, off offset:96
	;; [unrolled: 1-line block ×4, first 2 shown]
	s_clause 0x1
	scratch_store_b128 off, v[65:68], off offset:64
	scratch_store_b128 off, v[69:72], off offset:80
	s_clause 0x2
	scratch_load_b128 v[65:68], off, off offset:608
	scratch_load_b128 v[69:72], off, off offset:624
	scratch_load_b128 v[101:104], off, off offset:720
	s_clause 0x1
	scratch_store_b128 off, v[32:35], off
	scratch_store_b128 off, v[36:39], off offset:16
	v_mov_b32_e32 v36, v40
	v_dual_mov_b32 v37, v41 :: v_dual_mov_b32 v38, v42
	v_dual_mov_b32 v39, v43 :: v_dual_mov_b32 v40, v44
	v_mov_b32_e32 v41, v45
	v_mov_b32_e32 v42, v46
	v_mov_b32_e32 v43, v47
	s_waitcnt vmcnt(4)
	v_wmma_f32_16x16x16_f16 v[245:252], v[0:7], v[73:80], v[245:252]
	s_waitcnt vmcnt(3)
	v_wmma_f32_16x16x16_f16 v[49:56], v[0:7], v[236:243], v[49:56]
	v_wmma_f32_16x16x16_f16 v[145:152], v[0:7], v[188:195], v[145:152]
	;; [unrolled: 1-line block ×3, first 2 shown]
	s_clause 0x3
	scratch_load_b128 v[236:239], off, off offset:576
	scratch_load_b128 v[0:3], off, off offset:1344
	;; [unrolled: 1-line block ×4, first 2 shown]
	s_waitcnt vmcnt(0)
	v_wmma_f32_16x16x16_f16 v[236:243], v[0:7], v[73:80], v[236:243]
	v_wmma_f32_16x16x16_f16 v[65:72], v[0:7], v[57:64], v[65:72]
	;; [unrolled: 1-line block ×4, first 2 shown]
	s_clause 0x1
	scratch_load_b128 v[0:3], off, off offset:1280
	scratch_load_b128 v[4:7], off, off offset:1296
	s_waitcnt vmcnt(0)
	v_wmma_f32_16x16x16_f16 v[180:187], v[0:7], v[73:80], v[180:187]
	v_wmma_f32_16x16x16_f16 v[8:15], v[0:7], v[57:64], v[8:15]
	;; [unrolled: 1-line block ×4, first 2 shown]
	s_clause 0x1
	scratch_load_b128 v[0:3], off, off offset:1312
	scratch_load_b128 v[4:7], off, off offset:1328
	s_clause 0x1
	scratch_store_b128 off, v[8:11], off offset:384
	scratch_store_b128 off, v[12:15], off offset:400
	v_dual_mov_b32 v8, v212 :: v_dual_mov_b32 v9, v213
	v_dual_mov_b32 v10, v214 :: v_dual_mov_b32 v11, v215
	v_dual_mov_b32 v12, v216 :: v_dual_mov_b32 v13, v217
	v_dual_mov_b32 v14, v218 :: v_dual_mov_b32 v15, v219
	s_waitcnt vmcnt(0)
	v_wmma_f32_16x16x16_f16 v[153:160], v[0:7], v[73:80], v[153:160]
	v_wmma_f32_16x16x16_f16 v[81:88], v[0:7], v[57:64], v[81:88]
	;; [unrolled: 1-line block ×3, first 2 shown]
	v_dual_mov_b32 v219, v31 :: v_dual_mov_b32 v218, v30
	s_clause 0x1
	scratch_store_b128 off, v[153:156], off offset:448
	scratch_store_b128 off, v[157:160], off offset:464
	s_clause 0x1
	scratch_load_b128 v[153:156], off, off offset:416
	scratch_load_b128 v[157:160], off, off offset:432
	v_dual_mov_b32 v217, v29 :: v_dual_mov_b32 v216, v28
	v_dual_mov_b32 v215, v27 :: v_dual_mov_b32 v214, v26
	;; [unrolled: 1-line block ×3, first 2 shown]
	s_clause 0x1
	scratch_load_b128 v[24:27], off, off offset:800
	scratch_load_b128 v[28:31], off, off offset:816
	s_waitcnt vmcnt(2)
	v_wmma_f32_16x16x16_f16 v[153:160], v[0:7], v[188:195], v[153:160]
	s_clause 0x1
	scratch_load_b128 v[0:3], off, off offset:1216
	scratch_load_b128 v[4:7], off, off offset:1232
	s_waitcnt vmcnt(0)
	v_wmma_f32_16x16x16_f16 v[196:203], v[0:7], v[188:195], v[196:203]
	v_wmma_f32_16x16x16_f16 v[89:96], v[0:7], v[57:64], v[89:96]
	;; [unrolled: 1-line block ×4, first 2 shown]
	scratch_load_b128 v[0:3], off, off offset:1152 ; 16-byte Folded Reload
	s_clause 0x1
	scratch_store_b128 off, v[196:199], off offset:832
	scratch_store_b128 off, v[200:203], off offset:848
	s_clause 0x1
	scratch_load_b128 v[196:199], off, off offset:1248
	scratch_load_b128 v[200:203], off, off offset:1264
	s_clause 0x1
	scratch_store_b128 off, v[89:92], off offset:480
	scratch_store_b128 off, v[93:96], off offset:496
	s_clause 0x1
	scratch_load_b128 v[89:92], off, off offset:960
	scratch_load_b128 v[93:96], off, off offset:976
	;; [unrolled: 6-line block ×3, first 2 shown]
	scratch_load_b128 v[4:7], off, off offset:1168
	s_waitcnt vmcnt(5)
	v_wmma_f32_16x16x16_f16 v[16:23], v[196:203], v[73:80], v[16:23]
	s_waitcnt vmcnt(3)
	v_wmma_f32_16x16x16_f16 v[89:96], v[196:203], v[57:64], v[89:96]
	s_delay_alu instid0(VALU_DEP_2) | instskip(NEXT) | instid1(VALU_DEP_3)
	v_dual_mov_b32 v80, v23 :: v_dual_mov_b32 v79, v22
	v_dual_mov_b32 v78, v21 :: v_dual_mov_b32 v77, v20
	;; [unrolled: 1-line block ×8, first 2 shown]
	s_clause 0x3
	scratch_load_b128 v[196:199], off, off offset:896
	scratch_load_b128 v[200:203], off, off offset:912
	scratch_load_b128 v[57:60], off, off offset:320
	scratch_load_b128 v[61:64], off, off offset:336
	v_wmma_f32_16x16x16_f16 v[220:227], v[16:23], v[8:15], v[220:227]
	s_clause 0x1
	scratch_load_b128 v[8:11], off, off offset:32
	scratch_load_b128 v[12:15], off, off offset:48
	s_waitcnt vmcnt(4)
	v_wmma_f32_16x16x16_f16 v[196:203], v[16:23], v[188:195], v[196:203]
	s_clause 0x3
	scratch_load_b128 v[20:23], off, off offset:1184
	scratch_load_b128 v[188:191], off, off offset:1568
	;; [unrolled: 1-line block ×4, first 2 shown]
	s_waitcnt vmcnt(1)
	v_wmma_f32_16x16x16_f16 v[204:211], v[20:27], v[121:128], v[204:211]
	s_waitcnt vmcnt(0)
	v_wmma_f32_16x16x16_f16 v[228:235], v[20:27], v[188:195], v[228:235]
	v_wmma_f32_16x16x16_f16 v[57:64], v[20:27], v[28:35], v[57:64]
	;; [unrolled: 1-line block ×3, first 2 shown]
	s_clause 0x1
	scratch_store_b128 off, v[228:231], off offset:160
	scratch_store_b128 off, v[232:235], off offset:176
	s_clause 0x1
	scratch_load_b128 v[228:231], off, off offset:352
	scratch_load_b128 v[232:235], off, off offset:368
	s_clause 0x1
	scratch_store_b128 off, v[8:11], off offset:32
	scratch_store_b128 off, v[12:15], off offset:48
	v_dual_mov_b32 v8, v28 :: v_dual_mov_b32 v9, v29
	v_dual_mov_b32 v10, v30 :: v_dual_mov_b32 v11, v31
	v_dual_mov_b32 v12, v32 :: v_dual_mov_b32 v13, v33
	v_dual_mov_b32 v14, v34 :: v_dual_mov_b32 v15, v35
	s_waitcnt vmcnt(0)
	v_wmma_f32_16x16x16_f16 v[228:235], v[20:27], v[129:136], v[228:235]
	s_clause 0x1
	scratch_load_b128 v[20:23], off, off
	scratch_load_b128 v[24:27], off, off offset:16
	s_waitcnt vmcnt(0)
	v_wmma_f32_16x16x16_f16 v[20:27], v[0:7], v[121:128], v[20:27]
	s_clause 0x1
	scratch_store_b128 off, v[20:23], off
	scratch_store_b128 off, v[24:27], off offset:16
	v_dual_mov_b32 v16, v188 :: v_dual_mov_b32 v17, v189
	v_dual_mov_b32 v18, v190 :: v_dual_mov_b32 v19, v191
	v_dual_mov_b32 v20, v192 :: v_dual_mov_b32 v21, v193
	v_dual_mov_b32 v22, v194 :: v_dual_mov_b32 v23, v195
	s_clause 0x3
	scratch_load_b128 v[188:191], off, off offset:64
	scratch_load_b128 v[192:195], off, off offset:80
	;; [unrolled: 1-line block ×4, first 2 shown]
	s_waitcnt vmcnt(2)
	v_wmma_f32_16x16x16_f16 v[188:195], v[0:7], v[129:136], v[188:195]
	s_clause 0x1
	scratch_store_b128 off, v[188:191], off offset:64
	scratch_store_b128 off, v[192:195], off offset:80
	s_clause 0x1
	scratch_load_b128 v[188:191], off, off offset:128
	scratch_load_b128 v[192:195], off, off offset:144
	s_waitcnt vmcnt(0)
	v_wmma_f32_16x16x16_f16 v[188:195], v[0:7], v[8:15], v[188:195]
	s_clause 0x1
	scratch_load_b128 v[0:3], off, off offset:1120
	scratch_load_b128 v[4:7], off, off offset:1136
	s_waitcnt vmcnt(0)
	v_wmma_f32_16x16x16_f16 v[245:252], v[0:7], v[121:128], v[245:252]
	v_wmma_f32_16x16x16_f16 v[49:56], v[0:7], v[16:23], v[49:56]
	v_wmma_f32_16x16x16_f16 v[145:152], v[0:7], v[129:136], v[145:152]
	v_wmma_f32_16x16x16_f16 v[164:171], v[0:7], v[8:15], v[164:171]
	s_clause 0x1
	scratch_load_b128 v[0:3], off, off offset:1088
	scratch_load_b128 v[4:7], off, off offset:1104
	s_waitcnt vmcnt(0)
	v_wmma_f32_16x16x16_f16 v[236:243], v[0:7], v[121:128], v[236:243]
	v_wmma_f32_16x16x16_f16 v[65:72], v[0:7], v[16:23], v[65:72]
	v_wmma_f32_16x16x16_f16 v[107:114], v[0:7], v[129:136], v[107:114]
	;; [unrolled: 8-line block ×3, first 2 shown]
	v_wmma_f32_16x16x16_f16 v[36:43], v[0:7], v[8:15], v[36:43]
	scratch_load_b128 v[0:3], off, off offset:1024 ; 16-byte Folded Reload
	s_clause 0x1
	scratch_store_b128 off, v[24:27], off offset:384
	scratch_store_b128 off, v[28:31], off offset:400
	s_clause 0x2
	scratch_load_b128 v[24:27], off, off offset:448
	scratch_load_b128 v[4:7], off, off offset:1040
	;; [unrolled: 1-line block ×3, first 2 shown]
	s_clause 0x5
	scratch_store_b128 off, v[180:183], off offset:640
	scratch_store_b128 off, v[184:187], off offset:656
	;; [unrolled: 1-line block ×6, first 2 shown]
	s_waitcnt vmcnt(1)
	v_wmma_f32_16x16x16_f16 v[81:88], v[0:7], v[16:23], v[81:88]
	s_waitcnt vmcnt(0)
	v_wmma_f32_16x16x16_f16 v[24:31], v[0:7], v[121:128], v[24:31]
	v_wmma_f32_16x16x16_f16 v[153:160], v[0:7], v[129:136], v[153:160]
	;; [unrolled: 1-line block ×3, first 2 shown]
	s_clause 0x1
	scratch_load_b128 v[0:3], off, off offset:480
	scratch_load_b128 v[4:7], off, off offset:496
	s_clause 0x1
	scratch_store_b128 off, v[24:27], off offset:448
	scratch_store_b128 off, v[28:31], off offset:464
	s_clause 0x1
	scratch_load_b128 v[24:27], off, off offset:992
	scratch_load_b128 v[28:31], off, off offset:1008
	s_clause 0x3
	scratch_store_b128 off, v[81:84], off offset:864
	scratch_store_b128 off, v[85:88], off offset:880
	;; [unrolled: 1-line block ×4, first 2 shown]
	s_waitcnt vmcnt(0)
	v_wmma_f32_16x16x16_f16 v[0:7], v[24:31], v[16:23], v[0:7]
	v_wmma_f32_16x16x16_f16 v[212:219], v[24:31], v[121:128], v[212:219]
	s_clause 0x1
	scratch_store_b128 off, v[0:3], off offset:480
	scratch_store_b128 off, v[4:7], off offset:496
	s_clause 0x1
	scratch_load_b128 v[0:3], off, off offset:832
	scratch_load_b128 v[4:7], off, off offset:848
	s_clause 0x1
	scratch_store_b128 off, v[212:215], off offset:736
	scratch_store_b128 off, v[216:219], off offset:752
	s_waitcnt vmcnt(0)
	v_wmma_f32_16x16x16_f16 v[0:7], v[24:31], v[129:136], v[0:7]
	s_clause 0x1
	scratch_store_b128 off, v[0:3], off offset:832
	scratch_store_b128 off, v[4:7], off offset:848
	s_clause 0x1
	scratch_load_b128 v[0:3], off, off offset:800
	scratch_load_b128 v[4:7], off, off offset:816
	s_waitcnt vmcnt(0)
	v_wmma_f32_16x16x16_f16 v[0:7], v[24:31], v[8:15], v[0:7]
	s_clause 0x1
	scratch_store_b128 off, v[0:3], off offset:800
	scratch_store_b128 off, v[4:7], off offset:816
	s_clause 0x1
	scratch_load_b128 v[0:3], off, off offset:768
	scratch_load_b128 v[4:7], off, off offset:784
	s_waitcnt vmcnt(0)
	v_nop
	v_wmma_f32_16x16x16_f16 v[220:227], v[0:7], v[8:15], v[220:227]
	v_wmma_f32_16x16x16_f16 v[73:80], v[0:7], v[121:128], v[73:80]
	;; [unrolled: 1-line block ×4, first 2 shown]
	; sched_group_barrier mask(0x00000008) size(64) SyncID(0)
	s_delay_alu instid0(VALU_DEP_4)
	v_mov_b32_e32 v12, v220
	s_clause 0x3
	scratch_store_b128 off, v[73:76], off offset:928
	scratch_store_b128 off, v[77:80], off offset:944
	;; [unrolled: 1-line block ×4, first 2 shown]
	v_dual_mov_b32 v13, v221 :: v_dual_mov_b32 v14, v222
	v_dual_mov_b32 v15, v223 :: v_dual_mov_b32 v16, v224
	v_dual_mov_b32 v17, v225 :: v_dual_mov_b32 v18, v226
	v_mov_b32_e32 v19, v227
	; sched_barrier mask(0x00000000)
	v_cvt_f16_f32_e64 v0, v204
	v_mov_b32_e32 v7, v211
	s_clause 0x2
	scratch_load_b32 v106, off, off offset:1772
	scratch_load_b32 v105, off, off offset:1780
	;; [unrolled: 1-line block ×3, first 2 shown]
	scratch_store_b32 off, v0, off offset:288 ; 4-byte Folded Spill
	v_cvt_f16_f32_e64 v0, v205
	scratch_load_b32 v155, off, off offset:1784 ; 4-byte Folded Reload
	v_cvt_f16_f32_e64 v220, v57
	v_cvt_f16_f32_e64 v180, v59
	;; [unrolled: 1-line block ×3, first 2 shown]
	scratch_store_b32 off, v0, off offset:320 ; 4-byte Folded Spill
	v_cvt_f16_f32_e64 v0, v206
	v_cvt_f16_f32_e32 v8, v61
	v_cvt_f16_f32_e32 v30, v62
	;; [unrolled: 1-line block ×3, first 2 shown]
	v_mov_b32_e32 v35, v64
	scratch_store_b32 off, v0, off offset:352 ; 4-byte Folded Spill
	v_cvt_f16_f32_e64 v0, v207
	scratch_load_b128 v[41:44], off, off offset:64 ; 16-byte Folded Reload
	v_cvt_f16_f32_e64 v81, v145
	v_cvt_f16_f32_e64 v82, v146
	;; [unrolled: 1-line block ×3, first 2 shown]
	scratch_store_b32 off, v0, off offset:96 ; 4-byte Folded Spill
	v_cvt_f16_f32_e64 v0, v208
	v_cvt_f16_f32_e64 v84, v148
	;; [unrolled: 1-line block ×5, first 2 shown]
	scratch_store_b32 off, v0, off offset:128 ; 4-byte Folded Spill
	v_cvt_f16_f32_e64 v0, v209
	v_mov_b32_e32 v88, v152
	s_clause 0x2
	scratch_load_b128 v[131:134], off, off offset:640
	scratch_load_b128 v[139:142], off, off offset:384
	;; [unrolled: 1-line block ×3, first 2 shown]
	scratch_store_b32 off, v0, off offset:192 ; 4-byte Folded Spill
	v_cvt_f16_f32_e64 v0, v210
	s_clause 0x3
	scratch_load_b128 v[45:48], off, off offset:80
	scratch_load_b128 v[135:138], off, off offset:656
	;; [unrolled: 1-line block ×4, first 2 shown]
	scratch_store_b32 off, v0, off offset:224 ; 4-byte Folded Spill
	v_cvt_f16_f32_e32 v0, v7
	v_cvt_f16_f32_e64 v223, v228
	v_cvt_f16_f32_e64 v253, v229
	;; [unrolled: 1-line block ×4, first 2 shown]
	scratch_store_b32 off, v0, off offset:256 ; 4-byte Folded Spill
	s_clause 0x1
	scratch_load_b128 v[0:3], off, off offset:160
	scratch_load_b128 v[4:7], off, off offset:176
	s_waitcnt vmcnt(1)
	v_cvt_f16_f32_e64 v187, v0
	v_cvt_f16_f32_e32 v0, v1
	v_cvt_f16_f32_e64 v225, v232
	v_cvt_f16_f32_e64 v226, v233
	;; [unrolled: 1-line block ×3, first 2 shown]
	v_cvt_f16_f32_e32 v32, v35
	scratch_store_b32 off, v0, off offset:576 ; 4-byte Folded Spill
	v_cvt_f16_f32_e32 v0, v2
	v_cvt_f16_f32_e64 v33, v188
	v_cvt_f16_f32_e64 v34, v189
	v_cvt_f16_f32_e64 v35, v190
	v_cvt_f16_f32_e64 v36, v191
	scratch_store_b32 off, v0, off offset:608 ; 4-byte Folded Spill
	v_cvt_f16_f32_e32 v0, v3
	v_cvt_f16_f32_e64 v37, v192
	v_cvt_f16_f32_e64 v38, v193
	;; [unrolled: 1-line block ×4, first 2 shown]
	scratch_store_b32 off, v0, off offset:672 ; 4-byte Folded Spill
	v_cvt_f16_f32_e32 v41, v41
	v_cvt_f16_f32_e32 v42, v42
	v_cvt_f16_f32_e32 v43, v43
	v_cvt_f16_f32_e32 v44, v44
	v_cvt_f16_f32_e64 v9, v245
	v_cvt_f16_f32_e64 v10, v246
	;; [unrolled: 1-line block ×8, first 2 shown]
	v_mov_b32_e32 v80, v56
	v_cvt_f16_f32_e32 v73, v49
	v_cvt_f16_f32_e32 v74, v50
	;; [unrolled: 1-line block ×9, first 2 shown]
	v_mov_b32_e32 v96, v171
	v_cvt_f16_f32_e64 v89, v164
	v_cvt_f16_f32_e64 v90, v165
	;; [unrolled: 1-line block ×7, first 2 shown]
	v_cvt_f16_f32_e32 v96, v96
	v_cvt_f16_f32_e32 v97, v97
	;; [unrolled: 1-line block ×17, first 2 shown]
	v_mov_b32_e32 v122, v72
	v_cvt_f16_f32_e32 v115, v65
	v_cvt_f16_f32_e32 v116, v66
	;; [unrolled: 1-line block ×8, first 2 shown]
	v_mov_b32_e32 v130, v243
	v_cvt_f16_f32_e64 v123, v236
	v_cvt_f16_f32_e64 v124, v237
	;; [unrolled: 1-line block ×20, first 2 shown]
	v_lshrrev_b32_e32 v156, 3, v106
	s_delay_alu instid0(VALU_DEP_1)
	v_lshl_or_b32 v158, s2, 8, v156
	s_add_i32 s2, s5, s4
	s_lshl_b32 s4, s21, 5
	s_lshl_b32 s2, s2, 1
	v_cvt_f16_f32_e32 v45, v45
	v_cvt_f16_f32_e32 v46, v46
	;; [unrolled: 1-line block ×4, first 2 shown]
	v_cvt_f16_f32_e64 v135, v135
	v_cvt_f16_f32_e64 v136, v136
	;; [unrolled: 1-line block ×8, first 2 shown]
	s_waitcnt vmcnt(0)
	v_cvt_f16_f32_e64 v222, v7
	v_mov_b32_e32 v7, v235
	v_cvt_f16_f32_e32 v0, v4
	v_cvt_f16_f32_e64 v221, v6
	v_cvt_f16_f32_e64 v151, v151
	;; [unrolled: 1-line block ×4, first 2 shown]
	v_cvt_f16_f32_e32 v7, v58
	s_clause 0x1
	scratch_load_b128 v[57:60], off, off offset:32
	scratch_load_b128 v[61:64], off, off offset:48
	scratch_store_b32 off, v0, off offset:704 ; 4-byte Folded Spill
	v_cvt_f16_f32_e32 v0, v5
	s_waitcnt vmcnt(1)
	v_cvt_f16_f32_e32 v11, v57
	v_cvt_f16_f32_e32 v29, v58
	v_cvt_f16_f32_e64 v181, v59
	v_cvt_f16_f32_e64 v182, v60
	scratch_store_b32 off, v0, off offset:768 ; 4-byte Folded Spill
	v_lshlrev_b32_e32 v0, 5, v106
	v_cvt_f16_f32_e64 v153, v153
	v_cvt_f16_f32_e64 v154, v154
	s_delay_alu instid0(VALU_DEP_3) | instskip(NEXT) | instid1(VALU_DEP_1)
	v_and_b32_e32 v0, 0x200, v0
	v_and_or_b32 v0, v105, 48, v0
	v_and_b32_e32 v105, 0x400, v157
	v_and_b32_e32 v157, 56, v157
	s_delay_alu instid0(VALU_DEP_2) | instskip(NEXT) | instid1(VALU_DEP_2)
	v_or3_b32 v155, v0, v105, v155
	v_or_b32_e32 v0, s3, v157
	s_mov_b32 s3, 0x31004000
	s_delay_alu instid0(VALU_DEP_1) | instskip(NEXT) | instid1(VALU_DEP_3)
	v_mad_u64_u32 v[105:106], null, v158, s21, v[0:1]
	v_lshlrev_b32_e32 v0, 1, v155
	s_delay_alu instid0(VALU_DEP_2)
	v_lshlrev_b32_e32 v6, 1, v105
	s_waitcnt vmcnt(0)
	v_cvt_f16_f32_e64 v183, v61
	v_cvt_f16_f32_e64 v184, v62
	;; [unrolled: 1-line block ×4, first 2 shown]
	s_clause 0x1
	scratch_load_b128 v[57:60], off, off
	scratch_load_b128 v[61:64], off, off offset:16
	s_waitcnt vmcnt(0) lgkmcnt(0)
	s_waitcnt_vscnt null, 0x0
	s_barrier
	scratch_load_b32 v1, off, off offset:288 ; 4-byte Folded Reload
	v_cvt_f16_f32_e32 v57, v57
	v_cvt_f16_f32_e32 v58, v58
	;; [unrolled: 1-line block ×7, first 2 shown]
	s_waitcnt vmcnt(0)
	ds_store_b16 v0, v1
	scratch_load_b32 v1, off, off offset:320 ; 4-byte Folded Reload
	v_cvt_f16_f32_e32 v64, v64
	s_waitcnt vmcnt(0)
	ds_store_b16 v0, v1 offset:128
	scratch_load_b32 v1, off, off offset:352 ; 4-byte Folded Reload
	s_waitcnt vmcnt(0)
	ds_store_b16 v0, v1 offset:256
	scratch_load_b32 v1, off, off offset:96 ; 4-byte Folded Reload
	;; [unrolled: 3-line block ×6, first 2 shown]
	s_waitcnt vmcnt(0)
	ds_store_b16 v0, v1 offset:896
	v_lshlrev_b32_e32 v1, 1, v157
	s_waitcnt lgkmcnt(0)
	s_barrier
	s_delay_alu instid0(VALU_DEP_1)
	v_lshl_or_b32 v1, v156, 7, v1
	ds_load_2addr_b64 v[2:5], v1 offset1:1
	s_waitcnt lgkmcnt(0)
	buffer_store_b128 v[2:5], v6, s[0:3], 0 offen
	s_waitcnt lgkmcnt(0)
	s_waitcnt_vscnt null, 0x0
	s_barrier
	scratch_load_b32 v2, off, off offset:576 ; 4-byte Folded Reload
	ds_store_b16 v0, v187
	ds_store_b16 v0, v221 offset:768
	ds_store_b16 v0, v222 offset:896
	s_waitcnt vmcnt(0)
	ds_store_b16 v0, v2 offset:128
	scratch_load_b32 v2, off, off offset:608 ; 4-byte Folded Reload
	s_waitcnt vmcnt(0)
	ds_store_b16 v0, v2 offset:256
	scratch_load_b32 v2, off, off offset:672 ; 4-byte Folded Reload
	s_waitcnt vmcnt(0)
	ds_store_b16 v0, v2 offset:384
	scratch_load_b32 v2, off, off offset:704 ; 4-byte Folded Reload
	s_waitcnt vmcnt(0)
	ds_store_b16 v0, v2 offset:512
	scratch_load_b32 v2, off, off offset:768 ; 4-byte Folded Reload
	s_waitcnt vmcnt(0)
	ds_store_b16 v0, v2 offset:640
	s_waitcnt lgkmcnt(0)
	s_barrier
	ds_load_2addr_b64 v[2:5], v1 offset1:1
	s_waitcnt lgkmcnt(0)
	buffer_store_b128 v[2:5], v6, s[0:3], 0 offen offset:128
	s_waitcnt lgkmcnt(0)
	s_waitcnt_vscnt null, 0x0
	s_barrier
	ds_store_b16 v0, v223
	ds_store_b16 v0, v253 offset:128
	ds_store_b16 v0, v254 offset:256
	;; [unrolled: 1-line block ×7, first 2 shown]
	s_waitcnt lgkmcnt(0)
	s_barrier
	ds_load_2addr_b64 v[2:5], v1 offset1:1
	s_waitcnt lgkmcnt(0)
	buffer_store_b128 v[2:5], v6, s[0:3], 0 offen offset:256
	s_waitcnt lgkmcnt(0)
	s_waitcnt_vscnt null, 0x0
	s_barrier
	ds_store_b16 v0, v220
	ds_store_b16 v0, v7 offset:128
	ds_store_b16 v0, v180 offset:256
	ds_store_b16 v0, v244 offset:384
	ds_store_b16 v0, v8 offset:512
	ds_store_b16 v0, v30 offset:640
	ds_store_b16 v0, v31 offset:768
	ds_store_b16 v0, v32 offset:896
	s_waitcnt lgkmcnt(0)
	s_barrier
	ds_load_2addr_b64 v[2:5], v1 offset1:1
	v_add_nc_u32_e32 v7, 0xc0, v105
	s_delay_alu instid0(VALU_DEP_1)
	v_lshlrev_b32_e32 v8, 1, v7
	s_waitcnt lgkmcnt(0)
	s_clause 0x1
	buffer_store_b64 v[2:3], v8, s[0:3], 0 offen
	buffer_store_b64 v[4:5], v6, s[0:3], 0 offen offset:392
	s_waitcnt lgkmcnt(0)
	s_waitcnt_vscnt null, 0x0
	s_barrier
	ds_store_b16 v0, v33
	ds_store_b16 v0, v34 offset:128
	ds_store_b16 v0, v35 offset:256
	;; [unrolled: 1-line block ×7, first 2 shown]
	s_waitcnt lgkmcnt(0)
	s_barrier
	ds_load_2addr_b64 v[2:5], v1 offset1:1
	v_add_lshl_u32 v6, v7, s4, 1
	s_delay_alu instid0(VALU_DEP_1)
	v_add_nc_u32_e32 v7, 0xffffff80, v6
	s_waitcnt lgkmcnt(0)
	buffer_store_b128 v[2:5], v6, s[0:3], 0 offen
	s_waitcnt lgkmcnt(0)
	s_waitcnt_vscnt null, 0x0
	s_barrier
	ds_store_b16 v0, v41
	ds_store_b16 v0, v42 offset:128
	ds_store_b16 v0, v43 offset:256
	;; [unrolled: 1-line block ×7, first 2 shown]
	s_waitcnt lgkmcnt(0)
	s_barrier
	ds_load_2addr_b64 v[2:5], v1 offset1:1
	s_waitcnt lgkmcnt(0)
	buffer_store_b64 v[2:3], v7, s[0:3], 0 offen
	v_add_nc_u32_e32 v2, 0xffffff88, v6
	v_add_nc_u32_e32 v7, 0xffffff00, v6
	buffer_store_b64 v[4:5], v2, s[0:3], 0 offen
	s_waitcnt lgkmcnt(0)
	s_waitcnt_vscnt null, 0x0
	s_barrier
	ds_store_b16 v0, v11
	ds_store_b16 v0, v29 offset:128
	ds_store_b16 v0, v181 offset:256
	;; [unrolled: 1-line block ×7, first 2 shown]
	s_waitcnt lgkmcnt(0)
	s_barrier
	ds_load_2addr_b64 v[2:5], v1 offset1:1
	s_waitcnt lgkmcnt(0)
	buffer_store_b64 v[2:3], v7, s[0:3], 0 offen
	v_add_nc_u32_e32 v2, 0xffffff08, v6
	v_add_nc_u32_e32 v6, s4, v105
	buffer_store_b64 v[4:5], v2, s[0:3], 0 offen
	s_waitcnt lgkmcnt(0)
	s_waitcnt_vscnt null, 0x0
	s_barrier
	ds_store_b16 v0, v57
	ds_store_b16 v0, v58 offset:128
	ds_store_b16 v0, v59 offset:256
	;; [unrolled: 1-line block ×7, first 2 shown]
	s_waitcnt lgkmcnt(0)
	s_barrier
	ds_load_2addr_b64 v[2:5], v1 offset1:1
	v_lshlrev_b32_e32 v7, 1, v6
	v_add_nc_u32_e32 v6, s4, v6
	s_delay_alu instid0(VALU_DEP_1)
	v_add_nc_u32_e32 v8, 0xc0, v6
	s_waitcnt lgkmcnt(0)
	buffer_store_b128 v[2:5], v7, s[0:3], 0 offen
	s_waitcnt lgkmcnt(0)
	s_waitcnt_vscnt null, 0x0
	s_barrier
	ds_store_b16 v0, v9
	ds_store_b16 v0, v10 offset:128
	ds_store_b16 v0, v28 offset:256
	;; [unrolled: 1-line block ×7, first 2 shown]
	s_waitcnt lgkmcnt(0)
	s_barrier
	ds_load_2addr_b64 v[2:5], v1 offset1:1
	v_lshlrev_b32_e32 v7, 1, v6
	v_lshlrev_b32_e32 v9, 1, v8
	v_add_nc_u32_e32 v6, s4, v6
	s_waitcnt lgkmcnt(0)
	buffer_store_b128 v[2:5], v7, s[0:3], 0 offen
	s_waitcnt lgkmcnt(0)
	s_waitcnt_vscnt null, 0x0
	s_barrier
	ds_store_b16 v0, v73
	ds_store_b16 v0, v74 offset:128
	ds_store_b16 v0, v75 offset:256
	;; [unrolled: 1-line block ×7, first 2 shown]
	s_waitcnt lgkmcnt(0)
	s_barrier
	ds_load_2addr_b64 v[2:5], v1 offset1:1
	s_waitcnt lgkmcnt(0)
	buffer_store_b128 v[2:5], v7, s[0:3], 0 offen offset:128
	s_waitcnt lgkmcnt(0)
	s_waitcnt_vscnt null, 0x0
	s_barrier
	ds_store_b16 v0, v81
	ds_store_b16 v0, v82 offset:128
	ds_store_b16 v0, v83 offset:256
	;; [unrolled: 1-line block ×7, first 2 shown]
	s_waitcnt lgkmcnt(0)
	s_barrier
	ds_load_2addr_b64 v[2:5], v1 offset1:1
	s_waitcnt lgkmcnt(0)
	buffer_store_b128 v[2:5], v7, s[0:3], 0 offen offset:256
	s_waitcnt lgkmcnt(0)
	s_waitcnt_vscnt null, 0x0
	s_barrier
	ds_store_b16 v0, v89
	ds_store_b16 v0, v90 offset:128
	ds_store_b16 v0, v91 offset:256
	;; [unrolled: 1-line block ×7, first 2 shown]
	s_waitcnt lgkmcnt(0)
	s_barrier
	ds_load_2addr_b64 v[2:5], v1 offset1:1
	s_waitcnt lgkmcnt(0)
	s_clause 0x1
	buffer_store_b64 v[2:3], v9, s[0:3], 0 offen
	buffer_store_b64 v[4:5], v7, s[0:3], 0 offen offset:392
	s_waitcnt lgkmcnt(0)
	s_waitcnt_vscnt null, 0x0
	s_barrier
	ds_store_b16 v0, v97
	ds_store_b16 v0, v98 offset:128
	ds_store_b16 v0, v99 offset:256
	;; [unrolled: 1-line block ×7, first 2 shown]
	s_waitcnt lgkmcnt(0)
	s_barrier
	ds_load_2addr_b64 v[2:5], v1 offset1:1
	v_add_lshl_u32 v7, v8, s4, 1
	s_delay_alu instid0(VALU_DEP_1)
	v_add_nc_u32_e32 v8, 0xffffff80, v7
	s_waitcnt lgkmcnt(0)
	buffer_store_b128 v[2:5], v7, s[0:3], 0 offen
	s_waitcnt lgkmcnt(0)
	s_waitcnt_vscnt null, 0x0
	s_barrier
	ds_store_b16 v0, v107
	ds_store_b16 v0, v108 offset:128
	ds_store_b16 v0, v109 offset:256
	;; [unrolled: 1-line block ×7, first 2 shown]
	s_waitcnt lgkmcnt(0)
	s_barrier
	ds_load_2addr_b64 v[2:5], v1 offset1:1
	s_waitcnt lgkmcnt(0)
	buffer_store_b64 v[2:3], v8, s[0:3], 0 offen
	v_add_nc_u32_e32 v2, 0xffffff88, v7
	v_add_nc_u32_e32 v8, 0xffffff00, v7
	buffer_store_b64 v[4:5], v2, s[0:3], 0 offen
	s_waitcnt lgkmcnt(0)
	s_waitcnt_vscnt null, 0x0
	s_barrier
	ds_store_b16 v0, v115
	ds_store_b16 v0, v116 offset:128
	ds_store_b16 v0, v117 offset:256
	;; [unrolled: 1-line block ×7, first 2 shown]
	s_waitcnt lgkmcnt(0)
	s_barrier
	ds_load_2addr_b64 v[2:5], v1 offset1:1
	s_waitcnt lgkmcnt(0)
	buffer_store_b64 v[2:3], v8, s[0:3], 0 offen
	v_add_nc_u32_e32 v2, 0xffffff08, v7
	v_lshlrev_b32_e32 v7, 1, v6
	buffer_store_b64 v[4:5], v2, s[0:3], 0 offen
	s_waitcnt lgkmcnt(0)
	s_waitcnt_vscnt null, 0x0
	s_barrier
	ds_store_b16 v0, v123
	ds_store_b16 v0, v124 offset:128
	ds_store_b16 v0, v125 offset:256
	;; [unrolled: 1-line block ×7, first 2 shown]
	s_waitcnt lgkmcnt(0)
	s_barrier
	ds_load_2addr_b64 v[2:5], v1 offset1:1
	s_waitcnt lgkmcnt(0)
	buffer_store_b128 v[2:5], v7, s[0:3], 0 offen
	s_waitcnt lgkmcnt(0)
	s_waitcnt_vscnt null, 0x0
	s_barrier
	ds_store_b16 v0, v131
	ds_store_b16 v0, v132 offset:128
	ds_store_b16 v0, v133 offset:256
	ds_store_b16 v0, v134 offset:384
	ds_store_b16 v0, v135 offset:512
	ds_store_b16 v0, v136 offset:640
	ds_store_b16 v0, v137 offset:768
	ds_store_b16 v0, v138 offset:896
	v_add_nc_u32_e32 v2, s4, v6
	s_waitcnt lgkmcnt(0)
	s_barrier
	ds_load_2addr_b64 v[3:6], v1 offset1:1
	v_lshlrev_b32_e32 v7, 1, v2
	s_waitcnt lgkmcnt(0)
	buffer_store_b128 v[3:6], v7, s[0:3], 0 offen
	s_waitcnt lgkmcnt(0)
	s_waitcnt_vscnt null, 0x0
	s_barrier
	ds_store_b16 v0, v139
	ds_store_b16 v0, v140 offset:128
	ds_store_b16 v0, v141 offset:256
	;; [unrolled: 1-line block ×7, first 2 shown]
	s_waitcnt lgkmcnt(0)
	s_barrier
	ds_load_2addr_b64 v[3:6], v1 offset1:1
	s_waitcnt lgkmcnt(0)
	buffer_store_b128 v[3:6], v7, s[0:3], 0 offen offset:128
	s_waitcnt lgkmcnt(0)
	s_waitcnt_vscnt null, 0x0
	s_barrier
	ds_store_b16 v0, v147
	ds_store_b16 v0, v148 offset:128
	ds_store_b16 v0, v149 offset:256
	;; [unrolled: 1-line block ×7, first 2 shown]
	s_waitcnt lgkmcnt(0)
	s_barrier
	ds_load_2addr_b64 v[3:6], v1 offset1:1
	s_waitcnt lgkmcnt(0)
	buffer_store_b128 v[3:6], v7, s[0:3], 0 offen offset:256
	s_waitcnt lgkmcnt(0)
	s_waitcnt_vscnt null, 0x0
	s_barrier
	s_clause 0x1
	scratch_load_b128 v[28:31], off, off offset:512
	scratch_load_b128 v[32:35], off, off offset:528
	s_waitcnt vmcnt(1)
	v_cvt_f16_f32_e32 v3, v28
	v_cvt_f16_f32_e32 v4, v29
	;; [unrolled: 1-line block ×4, first 2 shown]
	ds_store_b16 v0, v3
	ds_store_b16 v0, v4 offset:128
	ds_store_b16 v0, v5 offset:256
	;; [unrolled: 1-line block ×3, first 2 shown]
	s_waitcnt vmcnt(0)
	v_cvt_f16_f32_e32 v8, v32
	v_cvt_f16_f32_e32 v9, v33
	;; [unrolled: 1-line block ×4, first 2 shown]
	ds_store_b16 v0, v8 offset:512
	ds_store_b16 v0, v9 offset:640
	;; [unrolled: 1-line block ×4, first 2 shown]
	s_waitcnt lgkmcnt(0)
	s_barrier
	ds_load_2addr_b64 v[3:6], v1 offset1:1
	v_add_nc_u32_e32 v8, 0xc0, v2
	v_cvt_f16_f32_e64 v10, v178
	v_cvt_f16_f32_e64 v11, v179
	s_delay_alu instid0(VALU_DEP_3)
	v_lshlrev_b32_e32 v9, 1, v8
	s_waitcnt lgkmcnt(0)
	s_clause 0x1
	buffer_store_b64 v[3:4], v9, s[0:3], 0 offen
	buffer_store_b64 v[5:6], v7, s[0:3], 0 offen offset:392
	v_cvt_f16_f32_e64 v3, v172
	v_cvt_f16_f32_e64 v4, v173
	;; [unrolled: 1-line block ×6, first 2 shown]
	s_waitcnt lgkmcnt(0)
	s_waitcnt_vscnt null, 0x0
	s_barrier
	ds_store_b16 v0, v3
	ds_store_b16 v0, v4 offset:128
	ds_store_b16 v0, v5 offset:256
	;; [unrolled: 1-line block ×7, first 2 shown]
	s_waitcnt lgkmcnt(0)
	s_barrier
	ds_load_2addr_b64 v[3:6], v1 offset1:1
	v_add_lshl_u32 v7, v8, s4, 1
	s_waitcnt lgkmcnt(0)
	buffer_store_b128 v[3:6], v7, s[0:3], 0 offen
	s_waitcnt lgkmcnt(0)
	s_waitcnt_vscnt null, 0x0
	s_barrier
	s_clause 0x1
	scratch_load_b128 v[20:23], off, off offset:416
	scratch_load_b128 v[24:27], off, off offset:432
	s_waitcnt vmcnt(1)
	v_cvt_f16_f32_e32 v3, v20
	v_cvt_f16_f32_e32 v4, v21
	;; [unrolled: 1-line block ×4, first 2 shown]
	ds_store_b16 v0, v3
	ds_store_b16 v0, v4 offset:128
	ds_store_b16 v0, v5 offset:256
	;; [unrolled: 1-line block ×3, first 2 shown]
	s_waitcnt vmcnt(0)
	v_cvt_f16_f32_e32 v8, v24
	v_cvt_f16_f32_e32 v9, v25
	;; [unrolled: 1-line block ×4, first 2 shown]
	ds_store_b16 v0, v8 offset:512
	ds_store_b16 v0, v9 offset:640
	ds_store_b16 v0, v10 offset:768
	ds_store_b16 v0, v11 offset:896
	s_waitcnt lgkmcnt(0)
	s_barrier
	ds_load_2addr_b64 v[3:6], v1 offset1:1
	v_add_nc_u32_e32 v8, 0xffffff80, v7
	v_add_nc_u32_e32 v9, 0xffffff88, v7
	s_waitcnt lgkmcnt(0)
	s_clause 0x1
	buffer_store_b64 v[3:4], v8, s[0:3], 0 offen
	buffer_store_b64 v[5:6], v9, s[0:3], 0 offen
	s_waitcnt lgkmcnt(0)
	s_waitcnt_vscnt null, 0x0
	s_barrier
	s_clause 0x1
	scratch_load_b128 v[20:23], off, off offset:864
	scratch_load_b128 v[24:27], off, off offset:880
	s_waitcnt vmcnt(1)
	v_cvt_f16_f32_e32 v3, v20
	v_cvt_f16_f32_e32 v4, v21
	;; [unrolled: 1-line block ×4, first 2 shown]
	ds_store_b16 v0, v3
	ds_store_b16 v0, v4 offset:128
	ds_store_b16 v0, v5 offset:256
	;; [unrolled: 1-line block ×3, first 2 shown]
	s_waitcnt vmcnt(0)
	v_cvt_f16_f32_e32 v8, v24
	v_cvt_f16_f32_e32 v9, v25
	v_cvt_f16_f32_e32 v10, v26
	v_cvt_f16_f32_e32 v11, v27
	ds_store_b16 v0, v8 offset:512
	ds_store_b16 v0, v9 offset:640
	;; [unrolled: 1-line block ×4, first 2 shown]
	s_waitcnt lgkmcnt(0)
	s_barrier
	ds_load_2addr_b64 v[3:6], v1 offset1:1
	v_add_nc_u32_e32 v8, 0xffffff00, v7
	v_add_nc_u32_e32 v7, 0xffffff08, v7
	s_waitcnt lgkmcnt(0)
	s_clause 0x1
	buffer_store_b64 v[3:4], v8, s[0:3], 0 offen
	buffer_store_b64 v[5:6], v7, s[0:3], 0 offen
	s_waitcnt lgkmcnt(0)
	s_waitcnt_vscnt null, 0x0
	s_barrier
	s_clause 0x1
	scratch_load_b128 v[3:6], off, off offset:448
	scratch_load_b128 v[7:10], off, off offset:464
	s_waitcnt vmcnt(1)
	v_cvt_f16_f32_e32 v3, v3
	v_cvt_f16_f32_e32 v4, v4
	;; [unrolled: 1-line block ×4, first 2 shown]
	ds_store_b16 v0, v3
	ds_store_b16 v0, v4 offset:128
	ds_store_b16 v0, v5 offset:256
	;; [unrolled: 1-line block ×3, first 2 shown]
	s_waitcnt vmcnt(0)
	v_cvt_f16_f32_e32 v7, v7
	v_cvt_f16_f32_e32 v8, v8
	;; [unrolled: 1-line block ×4, first 2 shown]
	ds_store_b16 v0, v7 offset:512
	ds_store_b16 v0, v8 offset:640
	ds_store_b16 v0, v9 offset:768
	ds_store_b16 v0, v10 offset:896
	s_waitcnt lgkmcnt(0)
	s_barrier
	ds_load_2addr_b64 v[3:6], v1 offset1:1
	v_add_nc_u32_e32 v7, s4, v2
	s_delay_alu instid0(VALU_DEP_1)
	v_lshlrev_b32_e32 v2, 1, v7
	s_waitcnt lgkmcnt(0)
	buffer_store_b128 v[3:6], v2, s[0:3], 0 offen
	s_waitcnt lgkmcnt(0)
	s_waitcnt_vscnt null, 0x0
	s_barrier
	s_clause 0x1
	scratch_load_b128 v[20:23], off, off offset:736
	scratch_load_b128 v[24:27], off, off offset:752
	s_waitcnt vmcnt(1)
	v_cvt_f16_f32_e32 v2, v20
	v_cvt_f16_f32_e32 v3, v21
	;; [unrolled: 1-line block ×4, first 2 shown]
	ds_store_b16 v0, v2
	ds_store_b16 v0, v3 offset:128
	ds_store_b16 v0, v4 offset:256
	;; [unrolled: 1-line block ×3, first 2 shown]
	s_waitcnt vmcnt(0)
	v_cvt_f16_f32_e32 v6, v24
	v_cvt_f16_f32_e32 v8, v25
	;; [unrolled: 1-line block ×4, first 2 shown]
	ds_store_b16 v0, v6 offset:512
	ds_store_b16 v0, v8 offset:640
	;; [unrolled: 1-line block ×4, first 2 shown]
	s_waitcnt lgkmcnt(0)
	s_barrier
	ds_load_2addr_b64 v[2:5], v1 offset1:1
	v_add_nc_u32_e32 v6, s4, v7
	s_delay_alu instid0(VALU_DEP_1)
	v_lshlrev_b32_e32 v7, 1, v6
	s_waitcnt lgkmcnt(0)
	buffer_store_b128 v[2:5], v7, s[0:3], 0 offen
	s_waitcnt lgkmcnt(0)
	s_waitcnt_vscnt null, 0x0
	s_barrier
	s_clause 0x1
	scratch_load_b128 v[20:23], off, off offset:480
	scratch_load_b128 v[24:27], off, off offset:496
	s_waitcnt vmcnt(1)
	v_cvt_f16_f32_e32 v2, v20
	v_cvt_f16_f32_e32 v3, v21
	;; [unrolled: 1-line block ×4, first 2 shown]
	ds_store_b16 v0, v2
	ds_store_b16 v0, v3 offset:128
	ds_store_b16 v0, v4 offset:256
	;; [unrolled: 1-line block ×3, first 2 shown]
	s_waitcnt vmcnt(0)
	v_cvt_f16_f32_e32 v8, v24
	v_cvt_f16_f32_e32 v9, v25
	;; [unrolled: 1-line block ×4, first 2 shown]
	ds_store_b16 v0, v8 offset:512
	ds_store_b16 v0, v9 offset:640
	;; [unrolled: 1-line block ×4, first 2 shown]
	s_waitcnt lgkmcnt(0)
	s_barrier
	ds_load_2addr_b64 v[2:5], v1 offset1:1
	s_waitcnt lgkmcnt(0)
	buffer_store_b128 v[2:5], v7, s[0:3], 0 offen offset:128
	s_waitcnt lgkmcnt(0)
	s_waitcnt_vscnt null, 0x0
	s_barrier
	s_clause 0x1
	scratch_load_b128 v[20:23], off, off offset:832
	scratch_load_b128 v[24:27], off, off offset:848
	s_waitcnt vmcnt(1)
	v_cvt_f16_f32_e32 v2, v20
	v_cvt_f16_f32_e32 v3, v21
	;; [unrolled: 1-line block ×4, first 2 shown]
	ds_store_b16 v0, v2
	ds_store_b16 v0, v3 offset:128
	ds_store_b16 v0, v4 offset:256
	;; [unrolled: 1-line block ×3, first 2 shown]
	s_waitcnt vmcnt(0)
	v_cvt_f16_f32_e32 v8, v24
	v_cvt_f16_f32_e32 v9, v25
	;; [unrolled: 1-line block ×4, first 2 shown]
	ds_store_b16 v0, v8 offset:512
	ds_store_b16 v0, v9 offset:640
	;; [unrolled: 1-line block ×4, first 2 shown]
	s_waitcnt lgkmcnt(0)
	s_barrier
	ds_load_2addr_b64 v[2:5], v1 offset1:1
	s_waitcnt lgkmcnt(0)
	buffer_store_b128 v[2:5], v7, s[0:3], 0 offen offset:256
	s_waitcnt lgkmcnt(0)
	s_waitcnt_vscnt null, 0x0
	s_barrier
	s_clause 0x1
	scratch_load_b128 v[20:23], off, off offset:800
	scratch_load_b128 v[24:27], off, off offset:816
	s_waitcnt vmcnt(1)
	v_cvt_f16_f32_e32 v2, v20
	v_cvt_f16_f32_e32 v3, v21
	;; [unrolled: 1-line block ×4, first 2 shown]
	ds_store_b16 v0, v2
	ds_store_b16 v0, v3 offset:128
	ds_store_b16 v0, v4 offset:256
	;; [unrolled: 1-line block ×3, first 2 shown]
	s_waitcnt vmcnt(0)
	v_cvt_f16_f32_e32 v8, v24
	v_cvt_f16_f32_e32 v9, v25
	;; [unrolled: 1-line block ×4, first 2 shown]
	ds_store_b16 v0, v8 offset:512
	ds_store_b16 v0, v9 offset:640
	;; [unrolled: 1-line block ×4, first 2 shown]
	s_waitcnt lgkmcnt(0)
	s_barrier
	ds_load_2addr_b64 v[2:5], v1 offset1:1
	v_add_nc_u32_e32 v8, 0xc0, v6
	v_cvt_f16_f32_e32 v10, v18
	v_cvt_f16_f32_e32 v11, v19
	s_delay_alu instid0(VALU_DEP_3)
	v_lshlrev_b32_e32 v9, 1, v8
	s_waitcnt lgkmcnt(0)
	s_clause 0x1
	buffer_store_b64 v[2:3], v9, s[0:3], 0 offen
	buffer_store_b64 v[4:5], v7, s[0:3], 0 offen offset:392
	v_cvt_f16_f32_e32 v2, v12
	v_cvt_f16_f32_e32 v3, v13
	;; [unrolled: 1-line block ×6, first 2 shown]
	s_waitcnt lgkmcnt(0)
	s_waitcnt_vscnt null, 0x0
	s_barrier
	ds_store_b16 v0, v2
	ds_store_b16 v0, v3 offset:128
	ds_store_b16 v0, v4 offset:256
	;; [unrolled: 1-line block ×7, first 2 shown]
	s_waitcnt lgkmcnt(0)
	s_barrier
	ds_load_2addr_b64 v[2:5], v1 offset1:1
	v_add_lshl_u32 v7, v8, s4, 1
	v_dual_mov_b32 v8, v196 :: v_dual_mov_b32 v9, v197
	v_dual_mov_b32 v10, v198 :: v_dual_mov_b32 v11, v199
	;; [unrolled: 1-line block ×4, first 2 shown]
	s_waitcnt lgkmcnt(0)
	buffer_store_b128 v[2:5], v7, s[0:3], 0 offen
	v_cvt_f16_f32_e32 v2, v8
	v_cvt_f16_f32_e32 v3, v9
	;; [unrolled: 1-line block ×8, first 2 shown]
	s_waitcnt lgkmcnt(0)
	s_waitcnt_vscnt null, 0x0
	s_barrier
	ds_store_b16 v0, v2
	ds_store_b16 v0, v3 offset:128
	ds_store_b16 v0, v4 offset:256
	;; [unrolled: 1-line block ×7, first 2 shown]
	s_waitcnt lgkmcnt(0)
	s_barrier
	ds_load_2addr_b64 v[2:5], v1 offset1:1
	v_add_nc_u32_e32 v8, 0xffffff80, v7
	v_add_nc_u32_e32 v9, 0xffffff88, v7
	s_waitcnt lgkmcnt(0)
	s_clause 0x1
	buffer_store_b64 v[2:3], v8, s[0:3], 0 offen
	buffer_store_b64 v[4:5], v9, s[0:3], 0 offen
	s_waitcnt lgkmcnt(0)
	s_waitcnt_vscnt null, 0x0
	s_barrier
	s_clause 0x1
	scratch_load_b128 v[8:11], off, off offset:960
	scratch_load_b128 v[12:15], off, off offset:976
	s_waitcnt vmcnt(1)
	v_cvt_f16_f32_e32 v2, v8
	v_cvt_f16_f32_e32 v3, v9
	;; [unrolled: 1-line block ×4, first 2 shown]
	ds_store_b16 v0, v2
	ds_store_b16 v0, v3 offset:128
	ds_store_b16 v0, v4 offset:256
	;; [unrolled: 1-line block ×3, first 2 shown]
	s_waitcnt vmcnt(0)
	v_cvt_f16_f32_e32 v8, v12
	v_cvt_f16_f32_e32 v9, v13
	;; [unrolled: 1-line block ×4, first 2 shown]
	ds_store_b16 v0, v8 offset:512
	ds_store_b16 v0, v9 offset:640
	;; [unrolled: 1-line block ×4, first 2 shown]
	s_waitcnt lgkmcnt(0)
	s_barrier
	ds_load_2addr_b64 v[2:5], v1 offset1:1
	v_add_nc_u32_e32 v8, 0xffffff00, v7
	v_add_nc_u32_e32 v7, 0xffffff08, v7
	s_waitcnt lgkmcnt(0)
	s_clause 0x1
	buffer_store_b64 v[2:3], v8, s[0:3], 0 offen
	buffer_store_b64 v[4:5], v7, s[0:3], 0 offen
	s_waitcnt lgkmcnt(0)
	s_waitcnt_vscnt null, 0x0
	s_barrier
	s_clause 0x1
	scratch_load_b128 v[7:10], off, off offset:928
	scratch_load_b128 v[11:14], off, off offset:944
	s_waitcnt vmcnt(1)
	v_cvt_f16_f32_e32 v2, v7
	v_cvt_f16_f32_e32 v3, v8
	;; [unrolled: 1-line block ×4, first 2 shown]
	ds_store_b16 v0, v2
	ds_store_b16 v0, v3 offset:128
	ds_store_b16 v0, v4 offset:256
	;; [unrolled: 1-line block ×3, first 2 shown]
	v_add_lshl_u32 v4, v6, s4, 1
	s_waitcnt vmcnt(0)
	v_cvt_f16_f32_e32 v7, v11
	v_cvt_f16_f32_e32 v8, v12
	;; [unrolled: 1-line block ×4, first 2 shown]
	ds_store_b16 v0, v7 offset:512
	ds_store_b16 v0, v8 offset:640
	;; [unrolled: 1-line block ×4, first 2 shown]
	s_waitcnt lgkmcnt(0)
	s_barrier
	ds_load_2addr_b64 v[0:3], v1 offset1:1
	s_waitcnt lgkmcnt(0)
	buffer_store_b128 v[0:3], v4, s[0:3], 0 offen
	s_nop 0
	s_sendmsg sendmsg(MSG_DEALLOC_VGPRS)
	s_endpgm
	.section	.rodata,"a",@progbits
	.p2align	6, 0x0
	.amdhsa_kernel _ZN2ck27kernel_gemm_xdl_cshuffle_v2INS_28GridwiseGemm_xdl_cshuffle_v2INS_13tensor_layout4gemm8RowMajorES4_S4_DF16_DF16_fDF16_DF16_NS_16tensor_operation12element_wise11PassThroughES7_S7_LNS5_6device18GemmSpecializationE0ELNS_25InMemoryDataOperationEnumE0ELi2ELi256ELi256ELi256ELi32ELi8ELi4ELi16ELi16ELi8ELi4ENS_8SequenceIJLi4ELi64ELi1EEEENSB_IJLi1ELi0ELi2EEEESD_Li2ELi8ELi8ELb0ELi0ENSB_IJLi8ELi32ELi1EEEENSB_IJLi0ELi2ELi1EEEESF_Li1ELi8ELi4ELb0ELi0ELi1ELi1ENSB_IJLi1ELi32ELi1ELi8EEEELi4ELNS_13LoopSchedulerE0ELNS_15PipelineVersionE0EDF16_DF16_EELb1ELi3EEEvNT_8ArgumentE
		.amdhsa_group_segment_fixed_size 65536
		.amdhsa_private_segment_fixed_size 1808
		.amdhsa_kernarg_size 96
		.amdhsa_user_sgpr_count 15
		.amdhsa_user_sgpr_dispatch_ptr 0
		.amdhsa_user_sgpr_queue_ptr 0
		.amdhsa_user_sgpr_kernarg_segment_ptr 1
		.amdhsa_user_sgpr_dispatch_id 0
		.amdhsa_user_sgpr_private_segment_size 0
		.amdhsa_wavefront_size32 1
		.amdhsa_uses_dynamic_stack 0
		.amdhsa_enable_private_segment 1
		.amdhsa_system_sgpr_workgroup_id_x 1
		.amdhsa_system_sgpr_workgroup_id_y 0
		.amdhsa_system_sgpr_workgroup_id_z 0
		.amdhsa_system_sgpr_workgroup_info 0
		.amdhsa_system_vgpr_workitem_id 0
		.amdhsa_next_free_vgpr 256
		.amdhsa_next_free_sgpr 25
		.amdhsa_reserve_vcc 0
		.amdhsa_float_round_mode_32 0
		.amdhsa_float_round_mode_16_64 0
		.amdhsa_float_denorm_mode_32 3
		.amdhsa_float_denorm_mode_16_64 3
		.amdhsa_dx10_clamp 1
		.amdhsa_ieee_mode 1
		.amdhsa_fp16_overflow 0
		.amdhsa_workgroup_processor_mode 1
		.amdhsa_memory_ordered 1
		.amdhsa_forward_progress 0
		.amdhsa_shared_vgpr_count 0
		.amdhsa_exception_fp_ieee_invalid_op 0
		.amdhsa_exception_fp_denorm_src 0
		.amdhsa_exception_fp_ieee_div_zero 0
		.amdhsa_exception_fp_ieee_overflow 0
		.amdhsa_exception_fp_ieee_underflow 0
		.amdhsa_exception_fp_ieee_inexact 0
		.amdhsa_exception_int_div_zero 0
	.end_amdhsa_kernel
	.section	.text._ZN2ck27kernel_gemm_xdl_cshuffle_v2INS_28GridwiseGemm_xdl_cshuffle_v2INS_13tensor_layout4gemm8RowMajorES4_S4_DF16_DF16_fDF16_DF16_NS_16tensor_operation12element_wise11PassThroughES7_S7_LNS5_6device18GemmSpecializationE0ELNS_25InMemoryDataOperationEnumE0ELi2ELi256ELi256ELi256ELi32ELi8ELi4ELi16ELi16ELi8ELi4ENS_8SequenceIJLi4ELi64ELi1EEEENSB_IJLi1ELi0ELi2EEEESD_Li2ELi8ELi8ELb0ELi0ENSB_IJLi8ELi32ELi1EEEENSB_IJLi0ELi2ELi1EEEESF_Li1ELi8ELi4ELb0ELi0ELi1ELi1ENSB_IJLi1ELi32ELi1ELi8EEEELi4ELNS_13LoopSchedulerE0ELNS_15PipelineVersionE0EDF16_DF16_EELb1ELi3EEEvNT_8ArgumentE,"axG",@progbits,_ZN2ck27kernel_gemm_xdl_cshuffle_v2INS_28GridwiseGemm_xdl_cshuffle_v2INS_13tensor_layout4gemm8RowMajorES4_S4_DF16_DF16_fDF16_DF16_NS_16tensor_operation12element_wise11PassThroughES7_S7_LNS5_6device18GemmSpecializationE0ELNS_25InMemoryDataOperationEnumE0ELi2ELi256ELi256ELi256ELi32ELi8ELi4ELi16ELi16ELi8ELi4ENS_8SequenceIJLi4ELi64ELi1EEEENSB_IJLi1ELi0ELi2EEEESD_Li2ELi8ELi8ELb0ELi0ENSB_IJLi8ELi32ELi1EEEENSB_IJLi0ELi2ELi1EEEESF_Li1ELi8ELi4ELb0ELi0ELi1ELi1ENSB_IJLi1ELi32ELi1ELi8EEEELi4ELNS_13LoopSchedulerE0ELNS_15PipelineVersionE0EDF16_DF16_EELb1ELi3EEEvNT_8ArgumentE,comdat
.Lfunc_end3:
	.size	_ZN2ck27kernel_gemm_xdl_cshuffle_v2INS_28GridwiseGemm_xdl_cshuffle_v2INS_13tensor_layout4gemm8RowMajorES4_S4_DF16_DF16_fDF16_DF16_NS_16tensor_operation12element_wise11PassThroughES7_S7_LNS5_6device18GemmSpecializationE0ELNS_25InMemoryDataOperationEnumE0ELi2ELi256ELi256ELi256ELi32ELi8ELi4ELi16ELi16ELi8ELi4ENS_8SequenceIJLi4ELi64ELi1EEEENSB_IJLi1ELi0ELi2EEEESD_Li2ELi8ELi8ELb0ELi0ENSB_IJLi8ELi32ELi1EEEENSB_IJLi0ELi2ELi1EEEESF_Li1ELi8ELi4ELb0ELi0ELi1ELi1ENSB_IJLi1ELi32ELi1ELi8EEEELi4ELNS_13LoopSchedulerE0ELNS_15PipelineVersionE0EDF16_DF16_EELb1ELi3EEEvNT_8ArgumentE, .Lfunc_end3-_ZN2ck27kernel_gemm_xdl_cshuffle_v2INS_28GridwiseGemm_xdl_cshuffle_v2INS_13tensor_layout4gemm8RowMajorES4_S4_DF16_DF16_fDF16_DF16_NS_16tensor_operation12element_wise11PassThroughES7_S7_LNS5_6device18GemmSpecializationE0ELNS_25InMemoryDataOperationEnumE0ELi2ELi256ELi256ELi256ELi32ELi8ELi4ELi16ELi16ELi8ELi4ENS_8SequenceIJLi4ELi64ELi1EEEENSB_IJLi1ELi0ELi2EEEESD_Li2ELi8ELi8ELb0ELi0ENSB_IJLi8ELi32ELi1EEEENSB_IJLi0ELi2ELi1EEEESF_Li1ELi8ELi4ELb0ELi0ELi1ELi1ENSB_IJLi1ELi32ELi1ELi8EEEELi4ELNS_13LoopSchedulerE0ELNS_15PipelineVersionE0EDF16_DF16_EELb1ELi3EEEvNT_8ArgumentE
                                        ; -- End function
	.section	.AMDGPU.csdata,"",@progbits
; Kernel info:
; codeLenInByte = 28712
; NumSgprs: 25
; NumVgprs: 256
; ScratchSize: 1808
; MemoryBound: 0
; FloatMode: 240
; IeeeMode: 1
; LDSByteSize: 65536 bytes/workgroup (compile time only)
; SGPRBlocks: 3
; VGPRBlocks: 31
; NumSGPRsForWavesPerEU: 25
; NumVGPRsForWavesPerEU: 256
; Occupancy: 4
; WaveLimiterHint : 0
; COMPUTE_PGM_RSRC2:SCRATCH_EN: 1
; COMPUTE_PGM_RSRC2:USER_SGPR: 15
; COMPUTE_PGM_RSRC2:TRAP_HANDLER: 0
; COMPUTE_PGM_RSRC2:TGID_X_EN: 1
; COMPUTE_PGM_RSRC2:TGID_Y_EN: 0
; COMPUTE_PGM_RSRC2:TGID_Z_EN: 0
; COMPUTE_PGM_RSRC2:TIDIG_COMP_CNT: 0
	.section	.text._ZN2ck27kernel_gemm_xdl_cshuffle_v2INS_28GridwiseGemm_xdl_cshuffle_v2INS_13tensor_layout4gemm8RowMajorES4_S4_DF16_DF16_fDF16_DF16_NS_16tensor_operation12element_wise11PassThroughES7_S7_LNS5_6device18GemmSpecializationE0ELNS_25InMemoryDataOperationEnumE0ELi2ELi256ELi256ELi256ELi32ELi8ELi4ELi16ELi16ELi8ELi4ENS_8SequenceIJLi4ELi64ELi1EEEENSB_IJLi1ELi0ELi2EEEESD_Li2ELi8ELi8ELb0ELi0ENSB_IJLi8ELi32ELi1EEEENSB_IJLi0ELi2ELi1EEEESF_Li1ELi8ELi4ELb0ELi0ELi1ELi1ENSB_IJLi1ELi32ELi1ELi8EEEELi4ELNS_13LoopSchedulerE0ELNS_15PipelineVersionE0EDF16_DF16_EELb1ELi2EEEvNT_8ArgumentE,"axG",@progbits,_ZN2ck27kernel_gemm_xdl_cshuffle_v2INS_28GridwiseGemm_xdl_cshuffle_v2INS_13tensor_layout4gemm8RowMajorES4_S4_DF16_DF16_fDF16_DF16_NS_16tensor_operation12element_wise11PassThroughES7_S7_LNS5_6device18GemmSpecializationE0ELNS_25InMemoryDataOperationEnumE0ELi2ELi256ELi256ELi256ELi32ELi8ELi4ELi16ELi16ELi8ELi4ENS_8SequenceIJLi4ELi64ELi1EEEENSB_IJLi1ELi0ELi2EEEESD_Li2ELi8ELi8ELb0ELi0ENSB_IJLi8ELi32ELi1EEEENSB_IJLi0ELi2ELi1EEEESF_Li1ELi8ELi4ELb0ELi0ELi1ELi1ENSB_IJLi1ELi32ELi1ELi8EEEELi4ELNS_13LoopSchedulerE0ELNS_15PipelineVersionE0EDF16_DF16_EELb1ELi2EEEvNT_8ArgumentE,comdat
	.protected	_ZN2ck27kernel_gemm_xdl_cshuffle_v2INS_28GridwiseGemm_xdl_cshuffle_v2INS_13tensor_layout4gemm8RowMajorES4_S4_DF16_DF16_fDF16_DF16_NS_16tensor_operation12element_wise11PassThroughES7_S7_LNS5_6device18GemmSpecializationE0ELNS_25InMemoryDataOperationEnumE0ELi2ELi256ELi256ELi256ELi32ELi8ELi4ELi16ELi16ELi8ELi4ENS_8SequenceIJLi4ELi64ELi1EEEENSB_IJLi1ELi0ELi2EEEESD_Li2ELi8ELi8ELb0ELi0ENSB_IJLi8ELi32ELi1EEEENSB_IJLi0ELi2ELi1EEEESF_Li1ELi8ELi4ELb0ELi0ELi1ELi1ENSB_IJLi1ELi32ELi1ELi8EEEELi4ELNS_13LoopSchedulerE0ELNS_15PipelineVersionE0EDF16_DF16_EELb1ELi2EEEvNT_8ArgumentE ; -- Begin function _ZN2ck27kernel_gemm_xdl_cshuffle_v2INS_28GridwiseGemm_xdl_cshuffle_v2INS_13tensor_layout4gemm8RowMajorES4_S4_DF16_DF16_fDF16_DF16_NS_16tensor_operation12element_wise11PassThroughES7_S7_LNS5_6device18GemmSpecializationE0ELNS_25InMemoryDataOperationEnumE0ELi2ELi256ELi256ELi256ELi32ELi8ELi4ELi16ELi16ELi8ELi4ENS_8SequenceIJLi4ELi64ELi1EEEENSB_IJLi1ELi0ELi2EEEESD_Li2ELi8ELi8ELb0ELi0ENSB_IJLi8ELi32ELi1EEEENSB_IJLi0ELi2ELi1EEEESF_Li1ELi8ELi4ELb0ELi0ELi1ELi1ENSB_IJLi1ELi32ELi1ELi8EEEELi4ELNS_13LoopSchedulerE0ELNS_15PipelineVersionE0EDF16_DF16_EELb1ELi2EEEvNT_8ArgumentE
	.globl	_ZN2ck27kernel_gemm_xdl_cshuffle_v2INS_28GridwiseGemm_xdl_cshuffle_v2INS_13tensor_layout4gemm8RowMajorES4_S4_DF16_DF16_fDF16_DF16_NS_16tensor_operation12element_wise11PassThroughES7_S7_LNS5_6device18GemmSpecializationE0ELNS_25InMemoryDataOperationEnumE0ELi2ELi256ELi256ELi256ELi32ELi8ELi4ELi16ELi16ELi8ELi4ENS_8SequenceIJLi4ELi64ELi1EEEENSB_IJLi1ELi0ELi2EEEESD_Li2ELi8ELi8ELb0ELi0ENSB_IJLi8ELi32ELi1EEEENSB_IJLi0ELi2ELi1EEEESF_Li1ELi8ELi4ELb0ELi0ELi1ELi1ENSB_IJLi1ELi32ELi1ELi8EEEELi4ELNS_13LoopSchedulerE0ELNS_15PipelineVersionE0EDF16_DF16_EELb1ELi2EEEvNT_8ArgumentE
	.p2align	8
	.type	_ZN2ck27kernel_gemm_xdl_cshuffle_v2INS_28GridwiseGemm_xdl_cshuffle_v2INS_13tensor_layout4gemm8RowMajorES4_S4_DF16_DF16_fDF16_DF16_NS_16tensor_operation12element_wise11PassThroughES7_S7_LNS5_6device18GemmSpecializationE0ELNS_25InMemoryDataOperationEnumE0ELi2ELi256ELi256ELi256ELi32ELi8ELi4ELi16ELi16ELi8ELi4ENS_8SequenceIJLi4ELi64ELi1EEEENSB_IJLi1ELi0ELi2EEEESD_Li2ELi8ELi8ELb0ELi0ENSB_IJLi8ELi32ELi1EEEENSB_IJLi0ELi2ELi1EEEESF_Li1ELi8ELi4ELb0ELi0ELi1ELi1ENSB_IJLi1ELi32ELi1ELi8EEEELi4ELNS_13LoopSchedulerE0ELNS_15PipelineVersionE0EDF16_DF16_EELb1ELi2EEEvNT_8ArgumentE,@function
_ZN2ck27kernel_gemm_xdl_cshuffle_v2INS_28GridwiseGemm_xdl_cshuffle_v2INS_13tensor_layout4gemm8RowMajorES4_S4_DF16_DF16_fDF16_DF16_NS_16tensor_operation12element_wise11PassThroughES7_S7_LNS5_6device18GemmSpecializationE0ELNS_25InMemoryDataOperationEnumE0ELi2ELi256ELi256ELi256ELi32ELi8ELi4ELi16ELi16ELi8ELi4ENS_8SequenceIJLi4ELi64ELi1EEEENSB_IJLi1ELi0ELi2EEEESD_Li2ELi8ELi8ELb0ELi0ENSB_IJLi8ELi32ELi1EEEENSB_IJLi0ELi2ELi1EEEESF_Li1ELi8ELi4ELb0ELi0ELi1ELi1ENSB_IJLi1ELi32ELi1ELi8EEEELi4ELNS_13LoopSchedulerE0ELNS_15PipelineVersionE0EDF16_DF16_EELb1ELi2EEEvNT_8ArgumentE: ; @_ZN2ck27kernel_gemm_xdl_cshuffle_v2INS_28GridwiseGemm_xdl_cshuffle_v2INS_13tensor_layout4gemm8RowMajorES4_S4_DF16_DF16_fDF16_DF16_NS_16tensor_operation12element_wise11PassThroughES7_S7_LNS5_6device18GemmSpecializationE0ELNS_25InMemoryDataOperationEnumE0ELi2ELi256ELi256ELi256ELi32ELi8ELi4ELi16ELi16ELi8ELi4ENS_8SequenceIJLi4ELi64ELi1EEEENSB_IJLi1ELi0ELi2EEEESD_Li2ELi8ELi8ELb0ELi0ENSB_IJLi8ELi32ELi1EEEENSB_IJLi0ELi2ELi1EEEESF_Li1ELi8ELi4ELb0ELi0ELi1ELi1ENSB_IJLi1ELi32ELi1ELi8EEEELi4ELNS_13LoopSchedulerE0ELNS_15PipelineVersionE0EDF16_DF16_EELb1ELi2EEEvNT_8ArgumentE
; %bb.0:
	s_clause 0x4
	s_load_b128 s[4:7], s[0:1], 0x10
	s_load_b64 s[20:21], s[0:1], 0x20
	s_load_b32 s8, s[0:1], 0x34
	s_load_b128 s[16:19], s[0:1], 0x48
	s_load_b64 s[0:1], s[0:1], 0x58
	v_mov_b32_e32 v79, v0
	s_mov_b32 s23, 0
	s_waitcnt lgkmcnt(0)
	s_add_i32 s2, s4, -1
	s_delay_alu instid0(SALU_CYCLE_1)
	s_cmpk_lt_u32 s2, 0x100
	s_cbranch_scc1 .LBB4_4
; %bb.1:
	s_add_i32 s2, s5, -1
	s_mov_b32 s3, 0
	s_cmpk_lt_u32 s2, 0x100
	s_cbranch_scc1 .LBB4_8
; %bb.2:
	s_add_i32 s2, s4, 0xff
	s_add_i32 s3, s5, 0xff
	s_ashr_i32 s9, s2, 31
	s_ashr_i32 s10, s3, 31
	s_lshr_b32 s9, s9, 24
	s_lshr_b32 s10, s10, 24
	s_add_i32 s2, s2, s9
	s_add_i32 s9, s3, s10
	s_ashr_i32 s3, s2, 8
	s_ashr_i32 s2, s9, 8
	s_ashr_i32 s12, s15, 31
	s_mul_i32 s9, s2, s3
	s_delay_alu instid0(SALU_CYCLE_1) | instskip(NEXT) | instid1(SALU_CYCLE_1)
	s_add_i32 s10, s9, 7
	s_ashr_i32 s11, s10, 31
	s_delay_alu instid0(SALU_CYCLE_1) | instskip(NEXT) | instid1(SALU_CYCLE_1)
	s_lshr_b32 s11, s11, 29
	s_add_i32 s14, s10, s11
	s_lshr_b32 s10, s12, 29
	s_and_b32 s11, s14, -8
	s_add_i32 s13, s15, s10
	s_sub_i32 s10, s9, s11
	s_and_b32 s9, s13, -8
	s_add_i32 s10, s10, 8
	s_sub_i32 s11, s15, s9
	s_ashr_i32 s12, s14, 3
	s_cmp_gt_i32 s11, s10
	s_cbranch_scc1 .LBB4_5
; %bb.3:
	s_mul_i32 s9, s12, s11
	s_ashr_i32 s13, s13, 3
	s_cbranch_execz .LBB4_6
	s_branch .LBB4_7
.LBB4_4:
	s_mov_b32 s2, 0
	s_branch .LBB4_9
.LBB4_5:
                                        ; implicit-def: $sgpr9
	s_ashr_i32 s13, s13, 3
.LBB4_6:
	s_add_i32 s9, s12, -1
	s_delay_alu instid0(SALU_CYCLE_1) | instskip(NEXT) | instid1(SALU_CYCLE_1)
	s_mul_i32 s9, s9, s11
	s_add_i32 s9, s10, s9
.LBB4_7:
	s_abs_i32 s10, s2
	s_add_i32 s9, s9, s13
	v_cvt_f32_u32_e32 v0, s10
	s_sub_i32 s12, 0, s10
	s_abs_i32 s13, s9
	s_delay_alu instid0(VALU_DEP_1) | instskip(SKIP_2) | instid1(VALU_DEP_1)
	v_rcp_iflag_f32_e32 v0, v0
	s_waitcnt_depctr 0xfff
	v_mul_f32_e32 v0, 0x4f7ffffe, v0
	v_cvt_u32_f32_e32 v0, v0
	s_delay_alu instid0(VALU_DEP_1) | instskip(NEXT) | instid1(VALU_DEP_1)
	v_readfirstlane_b32 s11, v0
	s_mul_i32 s12, s12, s11
	s_delay_alu instid0(SALU_CYCLE_1) | instskip(NEXT) | instid1(SALU_CYCLE_1)
	s_mul_hi_u32 s12, s11, s12
	s_add_i32 s11, s11, s12
	s_xor_b32 s12, s9, s2
	s_mul_hi_u32 s11, s13, s11
	s_ashr_i32 s12, s12, 31
	s_mul_i32 s14, s11, s10
	s_delay_alu instid0(SALU_CYCLE_1)
	s_sub_i32 s13, s13, s14
	s_add_i32 s14, s11, 1
	s_sub_i32 s15, s13, s10
	s_cmp_ge_u32 s13, s10
	s_cselect_b32 s11, s14, s11
	s_cselect_b32 s13, s15, s13
	s_add_i32 s14, s11, 1
	s_cmp_ge_u32 s13, s10
	s_cselect_b32 s10, s14, s11
	s_lshr_b32 s11, s3, 30
	s_xor_b32 s10, s10, s12
	s_add_i32 s11, s3, s11
	s_sub_i32 s10, s10, s12
	s_and_b32 s11, s11, -4
	s_mul_i32 s12, s10, s2
	s_sub_i32 s3, s3, s11
	s_sub_i32 s9, s9, s12
	s_cmp_ge_i32 s10, s11
	s_cselect_b32 s11, s3, 4
	s_ashr_i32 s12, s10, 31
	s_abs_i32 s3, s11
	s_lshr_b32 s12, s12, 30
	v_cvt_f32_u32_e32 v0, s3
	s_add_i32 s12, s10, s12
	s_sub_i32 s14, 0, s3
	s_and_b32 s12, s12, -4
	s_delay_alu instid0(SALU_CYCLE_1) | instskip(SKIP_2) | instid1(SALU_CYCLE_1)
	s_sub_i32 s12, s10, s12
	v_rcp_iflag_f32_e32 v0, v0
	s_mul_i32 s2, s12, s2
	s_add_i32 s2, s2, s9
	s_waitcnt_depctr 0xfff
	v_mul_f32_e32 v0, 0x4f7ffffe, v0
	s_delay_alu instid0(VALU_DEP_1) | instskip(NEXT) | instid1(VALU_DEP_1)
	v_cvt_u32_f32_e32 v0, v0
	v_readfirstlane_b32 s13, v0
	s_delay_alu instid0(VALU_DEP_1) | instskip(NEXT) | instid1(SALU_CYCLE_1)
	s_mul_i32 s14, s14, s13
	s_mul_hi_u32 s9, s13, s14
	s_abs_i32 s14, s2
	s_add_i32 s13, s13, s9
	s_delay_alu instid0(SALU_CYCLE_1)
	s_mul_hi_u32 s9, s14, s13
	s_xor_b32 s13, s2, s11
	s_mul_i32 s15, s9, s3
	s_ashr_i32 s13, s13, 31
	s_sub_i32 s14, s14, s15
	s_add_i32 s15, s9, 1
	s_sub_i32 s22, s14, s3
	s_cmp_ge_u32 s14, s3
	s_cselect_b32 s9, s15, s9
	s_cselect_b32 s14, s22, s14
	s_add_i32 s15, s9, 1
	s_cmp_ge_u32 s14, s3
	s_cselect_b32 s3, s15, s9
	s_delay_alu instid0(SALU_CYCLE_1) | instskip(NEXT) | instid1(SALU_CYCLE_1)
	s_xor_b32 s3, s3, s13
	s_sub_i32 s3, s3, s13
	s_delay_alu instid0(SALU_CYCLE_1) | instskip(NEXT) | instid1(SALU_CYCLE_1)
	s_mul_i32 s9, s3, s11
	s_sub_i32 s2, s2, s9
	s_delay_alu instid0(SALU_CYCLE_1) | instskip(NEXT) | instid1(SALU_CYCLE_1)
	s_add_i32 s2, s2, s10
	s_sub_i32 s15, s2, s12
.LBB4_8:
	s_delay_alu instid0(SALU_CYCLE_1)
	s_mov_b32 s2, s15
	s_mov_b32 s15, s3
.LBB4_9:
	v_lshrrev_b32_e32 v37, 5, v79
	s_add_u32 s22, 0, 0
	v_and_b32_e32 v12, 0xfc, v79
	s_addc_u32 s4, s4, -1
	s_add_u32 s3, 0, 0
	v_lshlrev_b32_e32 v15, 2, v37
	s_addc_u32 s9, s6, 0x7fffffff
	s_lshl_b32 s3, s2, 8
	v_lshlrev_b32_e32 v3, 3, v79
	v_add_nc_u32_e32 v13, s3, v12
	v_mul_lo_u32 v0, v15, s20
	v_bfe_u32 v1, v79, 1, 3
	s_lshl_b32 s3, s15, 8
	v_and_b32_e32 v38, 0xf8, v3
	v_mul_lo_u32 v14, v13, s7
	s_ashr_i32 s11, s8, 31
	v_and_b32_e32 v16, 3, v79
	v_and_b32_e32 v2, 15, v79
	v_add3_u32 v25, v0, v38, s3
	v_lshrrev_b32_e32 v0, 1, v79
	v_and_or_b32 v39, v3, 8, v1
	v_and_b32_e32 v40, 0x80, v79
	s_lshr_b32 s11, s11, 30
	s_mul_i32 s10, s4, s7
	s_add_i32 s8, s8, s11
	s_mul_i32 s12, s9, s20
	v_lshl_add_u32 v4, v16, 3, v14
	scratch_store_b32 off, v3, off offset:1700 ; 4-byte Folded Spill
	v_and_or_b32 v41, v0, 48, v2
	s_ashr_i32 s24, s8, 2
	; sched_barrier mask(0x00000000)
	v_add_nc_u32_e32 v29, s20, v25
	v_add_nc_u32_e32 v8, s7, v4
	s_add_i32 s6, s6, s10
	v_dual_mov_b32 v165, 0 :: v_dual_lshlrev_b32 v0, 1, v4
	s_delay_alu instid0(VALU_DEP_3) | instskip(NEXT) | instid1(VALU_DEP_3)
	v_add_nc_u32_e32 v33, s20, v29
	v_add_nc_u32_e32 v17, s7, v8
	v_lshlrev_b32_e32 v21, 1, v25
	v_lshlrev_b32_e32 v25, 1, v29
	s_lshl_b32 s10, s6, 1
	v_add_nc_u32_e32 v43, s20, v33
	v_add_nc_u32_e32 v42, s7, v17
	v_lshlrev_b32_e32 v29, 1, v33
	s_mov_b32 s11, 0x31004000
	v_lshlrev_b32_e32 v4, 1, v8
	v_lshlrev_b32_e32 v33, 1, v43
	s_add_i32 s6, s5, s12
	v_lshlrev_b32_e32 v8, 1, v17
	s_mov_b32 s8, s16
	s_mov_b32 s9, s17
	v_lshlrev_b32_e32 v17, 1, v42
	s_lshl_b32 s14, s6, 1
	s_mov_b32 s12, s18
	s_mov_b32 s13, s19
	;; [unrolled: 1-line block ×3, first 2 shown]
	s_clause 0x1
	buffer_load_b128 v[0:3], v0, s[8:11], 0 offen
	buffer_load_b128 v[4:7], v4, s[8:11], 0 offen
	s_clause 0x3
	buffer_load_b128 v[21:24], v21, s[12:15], 0 offen
	buffer_load_b128 v[25:28], v25, s[12:15], 0 offen
	;; [unrolled: 1-line block ×4, first 2 shown]
	s_clause 0x1
	buffer_load_b128 v[8:11], v8, s[8:11], 0 offen
	buffer_load_b128 v[17:20], v17, s[8:11], 0 offen
	v_lshlrev_b32_e32 v12, 4, v12
	v_lshlrev_b32_e32 v107, 3, v41
	s_mul_i32 s6, s7, -3
	s_mul_i32 s16, s20, 29
	s_add_i32 s6, s6, 32
	v_lshl_or_b32 v80, v16, 12, v12
	v_lshlrev_b32_e32 v12, 11, v37
	v_add_nc_u32_e32 v46, s6, v42
	v_add_nc_u32_e32 v62, s16, v43
	v_add_lshl_u32 v249, v14, s7, 1
	v_or_b32_e32 v106, 0x8000, v80
	v_lshl_or_b32 v105, v38, 3, v12
	s_lshl_b32 s17, s3, 1
	v_mov_b32_e32 v171, v165
	s_waitcnt vmcnt(7)
	ds_store_b128 v80, v[0:3]
	s_waitcnt vmcnt(6)
	ds_store_b128 v80, v[4:7] offset:16
	s_waitcnt vmcnt(1)
	ds_store_b128 v80, v[8:11] offset:32
	;; [unrolled: 2-line block ×3, first 2 shown]
	v_perm_b32 v0, v25, v21, 0x5040100
	v_perm_b32 v2, v25, v21, 0x7060302
	;; [unrolled: 1-line block ×4, first 2 shown]
	v_or_b32_e32 v12, 0x4000, v105
	v_perm_b32 v4, v26, v22, 0x5040100
	v_perm_b32 v6, v26, v22, 0x7060302
	;; [unrolled: 1-line block ×12, first 2 shown]
	scratch_store_b32 off, v12, off offset:1660 ; 4-byte Folded Spill
	ds_store_b128 v105, v[0:3] offset:16384
	ds_store_b128 v105, v[4:7] offset:16400
	;; [unrolled: 1-line block ×4, first 2 shown]
	v_lshlrev_b32_e32 v0, 1, v40
	s_waitcnt lgkmcnt(0)
	s_waitcnt_vscnt null, 0x0
	s_barrier
	v_mov_b32_e32 v166, v165
	v_mov_b32_e32 v168, v165
	v_lshl_or_b32 v0, v39, 4, v0
	ds_load_b128 v[1:4], v0
	ds_load_b128 v[5:8], v0 offset:4096
	s_waitcnt lgkmcnt(0)
	s_clause 0x1
	scratch_store_b128 off, v[1:4], off offset:1152
	scratch_store_b128 off, v[5:8], off offset:1168
	v_or_b32_e32 v1, 0x4000, v107
	ds_load_2addr_stride64_b64 v[225:228], v107 offset0:32 offset1:33
	scratch_store_b32 off, v1, off offset:1688 ; 4-byte Folded Spill
	ds_load_2addr_stride64_b64 v[66:69], v107 offset0:36 offset1:37
	ds_load_2addr_stride64_b64 v[5:8], v107 offset0:40 offset1:41
	;; [unrolled: 1-line block ×7, first 2 shown]
	ds_load_b128 v[17:20], v0 offset:512
	ds_load_b128 v[21:24], v0 offset:4608
	s_waitcnt lgkmcnt(0)
	s_clause 0x1
	scratch_store_b128 off, v[17:20], off offset:800
	scratch_store_b128 off, v[21:24], off offset:816
	ds_load_b128 v[17:20], v0 offset:1024
	ds_load_b128 v[21:24], v0 offset:5120
	s_waitcnt lgkmcnt(0)
	s_clause 0x1
	scratch_store_b128 off, v[17:20], off offset:1376
	scratch_store_b128 off, v[21:24], off offset:1392
	;; [unrolled: 6-line block ×8, first 2 shown]
	ds_load_2addr_stride64_b64 v[113:116], v107 offset0:48 offset1:49
	ds_load_2addr_stride64_b64 v[93:96], v107 offset0:52 offset1:53
	;; [unrolled: 1-line block ×8, first 2 shown]
	ds_load_b128 v[70:73], v0 offset:8704
	ds_load_b128 v[74:77], v0 offset:12800
	s_waitcnt lgkmcnt(0)
	s_clause 0x1
	scratch_store_b128 off, v[70:73], off offset:1184
	scratch_store_b128 off, v[74:77], off offset:1200
	v_mov_b32_e32 v141, v42
	ds_load_b128 v[70:73], v0 offset:9216
	ds_load_b128 v[74:77], v0 offset:13312
	s_waitcnt lgkmcnt(0)
	s_clause 0x1
	scratch_store_b128 off, v[70:73], off offset:1120
	scratch_store_b128 off, v[74:77], off offset:1136
	ds_load_b128 v[70:73], v0 offset:9728
	ds_load_b128 v[74:77], v0 offset:13824
	s_waitcnt lgkmcnt(0)
	s_clause 0x1
	scratch_store_b128 off, v[70:73], off offset:992
	scratch_store_b128 off, v[74:77], off offset:1008
	;; [unrolled: 6-line block ×5, first 2 shown]
	v_add_nc_u32_e32 v70, s20, v62
	v_add_nc_u32_e32 v37, s7, v46
	v_lshlrev_b32_e32 v21, 1, v46
	v_dual_mov_b32 v11, v95 :: v_dual_lshlrev_b32 v54, 1, v62
	s_delay_alu instid0(VALU_DEP_4) | instskip(NEXT) | instid1(VALU_DEP_4)
	v_add_nc_u32_e32 v74, s20, v70
	v_dual_mov_b32 v10, v116 :: v_dual_add_nc_u32 v41, s7, v37
	v_dual_mov_b32 v9, v115 :: v_dual_lshlrev_b32 v62, 1, v70
	s_delay_alu instid0(VALU_DEP_3)
	v_dual_mov_b32 v115, v93 :: v_dual_add_nc_u32 v78, s20, v74
	v_mov_b32_e32 v119, v58
	v_dual_mov_b32 v142, v43 :: v_dual_lshlrev_b32 v29, 1, v37
	v_dual_mov_b32 v12, v96 :: v_dual_lshlrev_b32 v37, 1, v41
	ds_load_b128 v[129:132], v0 offset:11776
	ds_load_b128 v[133:136], v0 offset:15872
	s_clause 0x1
	buffer_load_b128 v[21:24], v21, s[8:11], 0 offen
	buffer_load_b128 v[29:32], v29, s[8:11], 0 offen
	v_add_nc_u32_e32 v41, s7, v41
	s_clause 0x1
	buffer_load_b128 v[54:57], v54, s[12:15], 0 offen
	buffer_load_b128 v[62:65], v62, s[12:15], 0 offen
	v_dual_mov_b32 v117, v89 :: v_dual_lshlrev_b32 v70, 1, v74
	v_dual_mov_b32 v25, v36 :: v_dual_lshlrev_b32 v74, 1, v78
	buffer_load_b128 v[37:40], v37, s[8:11], 0 offen
	buffer_load_b128 v[70:73], v70, s[12:15], 0 offen
	v_dual_mov_b32 v230, v6 :: v_dual_lshlrev_b32 v199, 1, v14
	buffer_load_b128 v[74:77], v74, s[12:15], 0 offen
	v_mov_b32_e32 v14, v92
	v_dual_mov_b32 v143, v97 :: v_dual_lshlrev_b32 v46, 1, v41
	scratch_store_b32 off, v106, off offset:1668 ; 4-byte Folded Spill
	v_dual_mov_b32 v116, v94 :: v_dual_add_nc_u32 v41, s6, v41
	buffer_load_b128 v[46:49], v46, s[8:11], 0 offen
	s_waitcnt vmcnt(7)
	ds_store_b128 v80, v[21:24] offset:32768
	s_waitcnt vmcnt(6)
	ds_store_b128 v80, v[29:32] offset:32784
	s_waitcnt vmcnt(3)
	ds_store_b128 v80, v[37:40] offset:32800
	v_perm_b32 v21, v62, v54, 0x5040100
	v_perm_b32 v23, v62, v54, 0x7060302
	v_or_b32_e32 v54, 0x8000, v105
	scratch_store_b32 off, v80, off offset:1652 ; 4-byte Folded Spill
	v_perm_b32 v29, v63, v55, 0x5040100
	s_waitcnt vmcnt(1)
	v_perm_b32 v22, v74, v70, 0x5040100
	v_perm_b32 v24, v74, v70, 0x7060302
	scratch_store_b32 off, v54, off offset:1672 ; 4-byte Folded Spill
	v_or_b32_e32 v54, 0xc000, v105
	v_perm_b32 v31, v63, v55, 0x7060302
	v_perm_b32 v30, v75, v71, 0x5040100
	;; [unrolled: 1-line block ×7, first 2 shown]
	s_waitcnt vmcnt(0)
	ds_store_b128 v80, v[46:49] offset:32816
	scratch_store_b32 off, v54, off offset:1676 ; 4-byte Folded Spill
	ds_store_b128 v105, v[21:24] offset:49152
	ds_store_b128 v105, v[29:32] offset:49168
	;; [unrolled: 1-line block ×3, first 2 shown]
	v_dual_mov_b32 v118, v90 :: v_dual_lshlrev_b32 v21, 1, v41
	scratch_store_b32 off, v105, off offset:1656 ; 4-byte Folded Spill
	v_mov_b32_e32 v26, v87
	v_mov_b32_e32 v28, v83
	buffer_load_b128 v[145:148], v21, s[8:11], 0 offen
	v_add_nc_u32_e32 v21, s7, v41
	v_dual_mov_b32 v27, v88 :: v_dual_add_nc_u32 v78, s16, v78
	v_perm_b32 v46, v65, v57, 0x5040100
	v_perm_b32 v48, v65, v57, 0x7060302
	s_delay_alu instid0(VALU_DEP_4)
	v_lshlrev_b32_e32 v22, 1, v21
	v_add_nc_u32_e32 v21, s7, v21
	v_perm_b32 v47, v77, v73, 0x5040100
	v_perm_b32 v49, v77, v73, 0x7060302
	v_mov_b32_e32 v76, v104
	buffer_load_b128 v[29:32], v22, s[8:11], 0 offen
	v_lshlrev_b32_e32 v22, 1, v21
	v_add_lshl_u32 v21, v21, s7, 1
	ds_store_b128 v105, v[46:49] offset:49200
	v_mov_b32_e32 v40, v51
	v_mov_b32_e32 v232, v2
	v_dual_mov_b32 v56, v4 :: v_dual_mov_b32 v55, v3
	v_mov_b32_e32 v229, v5
	v_mov_b32_e32 v231, v1
	;; [unrolled: 1-line block ×7, first 2 shown]
	v_dual_mov_b32 v6, v165 :: v_dual_mov_b32 v49, v227
	v_mov_b32_e32 v227, v66
	v_mov_b32_e32 v65, v165
	;; [unrolled: 1-line block ×6, first 2 shown]
	v_dual_mov_b32 v144, v98 :: v_dual_mov_b32 v73, v139
	v_mov_b32_e32 v80, v100
	v_dual_mov_b32 v74, v140 :: v_dual_mov_b32 v75, v103
	v_mov_b32_e32 v77, v44
	v_dual_mov_b32 v139, v101 :: v_dual_mov_b32 v140, v102
	s_add_i32 s6, s24, -3
	s_lshl_b32 s16, s20, 7
	v_mov_b32_e32 v36, v86
	scratch_store_b32 off, v0, off offset:1664 ; 4-byte Folded Spill
	v_or_b32_e32 v0, 0x8000, v0
	v_dual_mov_b32 v37, v81 :: v_dual_mov_b32 v38, v82
	v_dual_mov_b32 v39, v50 :: v_dual_mov_b32 v50, v228
	scratch_store_b32 off, v0, off offset:1708 ; 4-byte Folded Spill
	v_or_b32_e32 v0, 0x8000, v107
	v_mov_b32_e32 v51, v68
	v_mov_b32_e32 v54, v8
	v_dual_mov_b32 v228, v67 :: v_dual_mov_b32 v67, v165
	v_mov_b32_e32 v66, v165
	v_mov_b32_e32 v68, v165
	s_waitcnt vmcnt(0)
	scratch_store_b128 off, v[29:32], off offset:1424 ; 16-byte Folded Spill
	buffer_load_b128 v[29:32], v22, s[8:11], 0 offen
	s_waitcnt vmcnt(0)
	scratch_store_b128 off, v[29:32], off offset:1456 ; 16-byte Folded Spill
	buffer_load_b128 v[21:24], v21, s[8:11], 0 offen
	s_waitcnt vmcnt(0)
	scratch_store_b128 off, v[21:24], off offset:1472 ; 16-byte Folded Spill
	v_lshlrev_b32_e32 v21, 1, v78
	buffer_load_b128 v[21:24], v21, s[12:15], 0 offen
	s_waitcnt vmcnt(0)
	scratch_store_b128 off, v[21:24], off offset:1408 ; 16-byte Folded Spill
	v_dual_mov_b32 v78, v45 :: v_dual_add_nc_u32 v21, s20, v78
	s_delay_alu instid0(VALU_DEP_1)
	v_lshlrev_b32_e32 v22, 1, v21
	v_add_nc_u32_e32 v21, s20, v21
	buffer_load_b128 v[29:32], v22, s[12:15], 0 offen
	v_lshlrev_b32_e32 v22, 1, v21
	v_add_lshl_u32 v21, v21, s20, 1
	s_waitcnt vmcnt(0)
	scratch_store_b128 off, v[29:32], off offset:1440 ; 16-byte Folded Spill
	s_clause 0x1
	buffer_load_b128 v[173:176], v22, s[12:15], 0 offen
	buffer_load_b128 v[21:24], v21, s[12:15], 0 offen
	v_mov_b32_e32 v31, v53
	v_mov_b32_e32 v53, v7
	v_dual_mov_b32 v7, v165 :: v_dual_mov_b32 v30, v52
	v_mov_b32_e32 v52, v69
	v_mov_b32_e32 v69, v165
	;; [unrolled: 1-line block ×3, first 2 shown]
	s_waitcnt vmcnt(0)
	s_clause 0x2
	scratch_store_b128 off, v[21:24], off offset:1488
	scratch_store_b32 off, v0, off offset:1712
	scratch_store_b32 off, v107, off offset:1684
	v_or_b32_e32 v0, 0xc000, v107
	v_and_b32_e32 v21, 31, v79
	s_clause 0x1
	scratch_store_b32 off, v0, off offset:1704
	scratch_store_b32 off, v79, off offset:1696
	v_lshlrev_b32_e32 v0, 4, v21
	v_or_b32_e32 v21, 0x83, v15
	v_mov_b32_e32 v24, v35
	v_mov_b32_e32 v79, v99
	;; [unrolled: 1-line block ×3, first 2 shown]
	scratch_store_b32 off, v0, off offset:1680 ; 4-byte Folded Spill
	v_mul_lo_u32 v21, s20, v21
	s_delay_alu instid0(VALU_DEP_1) | instskip(SKIP_1) | instid1(VALU_DEP_1)
	v_lshl_add_u32 v220, v21, 1, s17
	v_or_b32_e32 v21, 0x82, v15
	v_mul_lo_u32 v21, s20, v21
	s_delay_alu instid0(VALU_DEP_1) | instskip(SKIP_1) | instid1(VALU_DEP_1)
	v_lshl_add_u32 v215, v21, 1, s17
	v_or_b32_e32 v21, 0x81, v15
	v_mul_lo_u32 v21, s20, v21
	s_delay_alu instid0(VALU_DEP_1)
	v_lshl_add_u32 v0, v21, 1, s17
	v_or_b32_e32 v21, 0x80, v15
	scratch_store_b32 off, v0, off offset:1504 ; 4-byte Folded Spill
	v_lshlrev_b32_e32 v0, 4, v16
	v_mul_lo_u32 v21, s20, v21
	v_mov_b32_e32 v16, v61
	scratch_store_b32 off, v0, off offset:1692 ; 4-byte Folded Spill
	v_mov_b32_e32 v0, v165
	s_clause 0x1f
	scratch_store_b128 off, v[0:3], off offset:128
	scratch_store_b128 off, v[4:7], off offset:144
	scratch_store_b128 off, v[0:3], off offset:672
	scratch_store_b128 off, v[4:7], off offset:688
	scratch_store_b128 off, v[0:3], off offset:96
	scratch_store_b128 off, v[4:7], off offset:112
	scratch_store_b128 off, v[0:3], off offset:640
	scratch_store_b128 off, v[4:7], off offset:656
	scratch_store_b128 off, v[0:3], off offset:320
	scratch_store_b128 off, v[4:7], off offset:336
	scratch_store_b128 off, v[0:3], off offset:352
	scratch_store_b128 off, v[4:7], off offset:368
	scratch_store_b128 off, v[0:3], off offset:832
	scratch_store_b128 off, v[4:7], off offset:848
	scratch_store_b128 off, v[0:3], off offset:864
	scratch_store_b128 off, v[4:7], off offset:880
	scratch_store_b128 off, v[0:3], off offset:608
	scratch_store_b128 off, v[4:7], off offset:624
	scratch_store_b128 off, v[0:3], off offset:544
	scratch_store_b128 off, v[4:7], off offset:560
	scratch_store_b128 off, v[0:3], off offset:512
	scratch_store_b128 off, v[4:7], off offset:528
	scratch_store_b128 off, v[0:3], off offset:384
	scratch_store_b128 off, v[4:7], off offset:400
	scratch_store_b128 off, v[0:3], off offset:480
	scratch_store_b128 off, v[4:7], off offset:496
	scratch_store_b128 off, v[0:3], off offset:896
	scratch_store_b128 off, v[4:7], off offset:912
	scratch_store_b128 off, v[0:3], off offset:576
	scratch_store_b128 off, v[4:7], off offset:592
	scratch_store_b128 off, v[0:3], off offset:416
	scratch_store_b128 off, v[4:7], off offset:432
	s_clause 0x3
	scratch_store_b128 off, v[0:3], off offset:448
	scratch_store_b128 off, v[4:7], off offset:464
	;; [unrolled: 1-line block ×4, first 2 shown]
	v_mov_b32_e32 v170, v165
	v_mov_b32_e32 v172, v165
	v_lshl_add_u32 v250, v21, 1, s17
	v_or_b32_e32 v21, 0x63, v15
	s_delay_alu instid0(VALU_DEP_1) | instskip(NEXT) | instid1(VALU_DEP_1)
	v_mul_lo_u32 v21, s20, v21
	v_lshl_add_u32 v216, v21, 1, s17
	v_or_b32_e32 v21, 0x62, v15
	s_delay_alu instid0(VALU_DEP_1) | instskip(NEXT) | instid1(VALU_DEP_1)
	v_mul_lo_u32 v21, s20, v21
	v_lshl_add_u32 v233, v21, 1, s17
	v_or_b32_e32 v21, 0x61, v15
	v_or_b32_e32 v15, 0x60, v15
	s_delay_alu instid0(VALU_DEP_2) | instskip(NEXT) | instid1(VALU_DEP_2)
	v_mul_lo_u32 v21, s20, v21
	v_mul_lo_u32 v15, s20, v15
	s_delay_alu instid0(VALU_DEP_2) | instskip(NEXT) | instid1(VALU_DEP_2)
	v_lshl_add_u32 v218, v21, 1, s17
	v_lshl_add_u32 v219, v15, 1, s17
	v_add_nc_u32_e32 v15, 3, v13
	v_add_nc_u32_e32 v13, 2, v13
	s_delay_alu instid0(VALU_DEP_2) | instskip(NEXT) | instid1(VALU_DEP_2)
	v_mul_lo_u32 v15, s7, v15
	v_mul_lo_u32 v13, s7, v13
	s_delay_alu instid0(VALU_DEP_2) | instskip(NEXT) | instid1(VALU_DEP_2)
	v_lshl_add_u32 v190, v15, 1, 0x100
	v_lshlrev_b32_e32 v201, 1, v13
	v_mov_b32_e32 v13, v91
	v_dual_mov_b32 v15, v60 :: v_dual_mov_b32 v188, v7
	v_dual_mov_b32 v187, v6 :: v_dual_mov_b32 v186, v5
	v_mov_b32_e32 v183, v2
	v_dual_mov_b32 v185, v4 :: v_dual_mov_b32 v184, v3
	v_dual_mov_b32 v182, v1 :: v_dual_mov_b32 v181, v0
	s_clause 0x3
	scratch_store_b128 off, v[0:3], off offset:288
	scratch_store_b128 off, v[4:7], off offset:304
	;; [unrolled: 1-line block ×4, first 2 shown]
	v_mov_b32_e32 v167, v165
	v_dual_mov_b32 v169, v165 :: v_dual_mov_b32 v198, v7
	v_dual_mov_b32 v194, v3 :: v_dual_mov_b32 v197, v6
	v_dual_mov_b32 v196, v5 :: v_dual_mov_b32 v195, v4
	v_dual_mov_b32 v192, v1 :: v_dual_mov_b32 v193, v2
	v_mov_b32_e32 v191, v0
	s_clause 0x11
	scratch_store_b128 off, v[0:3], off offset:768
	scratch_store_b128 off, v[4:7], off offset:784
	;; [unrolled: 1-line block ×6, first 2 shown]
	scratch_store_b128 off, v[0:3], off
	scratch_store_b128 off, v[4:7], off offset:16
	scratch_store_b128 off, v[0:3], off offset:160
	;; [unrolled: 1-line block ×11, first 2 shown]
	s_clause 0x1
	scratch_load_b32 v248, off, off offset:1664
	scratch_load_b32 v238, off, off offset:1684
.LBB4_10:                               ; =>This Inner Loop Header: Depth=1
	s_waitcnt vmcnt(1)
	v_or_b32_e32 v247, 0x8000, v248
	s_waitcnt lgkmcnt(8)
	s_clause 0x8
	scratch_store_b128 off, v[129:132], off offset:1620
	scratch_store_b128 off, v[133:136], off offset:1636
	scratch_store_b32 off, v190, off offset:1532
	scratch_store_b32 off, v199, off offset:1528
	;; [unrolled: 1-line block ×7, first 2 shown]
	s_waitcnt vmcnt(0) lgkmcnt(0)
	s_waitcnt_vscnt null, 0x0
	s_barrier
	ds_load_b128 v[57:60], v247
	scratch_load_b128 v[149:152], off, off offset:864 ; 16-byte Folded Reload
	ds_load_b128 v[61:64], v247 offset:4096
	s_clause 0x4
	scratch_load_b128 v[153:156], off, off offset:880
	scratch_load_b128 v[85:88], off, off offset:1152
	;; [unrolled: 1-line block ×5, first 2 shown]
	v_or_b32_e32 v105, 0x8000, v238
	v_mov_b32_e32 v23, v16
	v_dual_mov_b32 v22, v15 :: v_dual_mov_b32 v21, v14
	v_dual_mov_b32 v20, v13 :: v_dual_mov_b32 v19, v12
	;; [unrolled: 1-line block ×3, first 2 shown]
	v_mov_b32_e32 v16, v9
	v_dual_mov_b32 v214, v188 :: v_dual_mov_b32 v213, v187
	v_mov_b32_e32 v212, v186
	s_waitcnt lgkmcnt(0)
	s_clause 0x1
	scratch_store_b128 off, v[57:60], off offset:1152
	scratch_store_b128 off, v[61:64], off offset:1168
	s_clause 0x1
	scratch_load_b128 v[57:60], off, off offset:512
	scratch_load_b128 v[61:64], off, off offset:528
	v_dual_mov_b32 v211, v185 :: v_dual_mov_b32 v210, v184
	v_dual_mov_b32 v209, v183 :: v_dual_mov_b32 v208, v182
	v_mov_b32_e32 v207, v181
	v_dual_mov_b32 v181, v191 :: v_dual_mov_b32 v182, v192
	v_dual_mov_b32 v183, v193 :: v_dual_mov_b32 v184, v194
	;; [unrolled: 1-line block ×4, first 2 shown]
	s_clause 0x8
	scratch_load_b128 v[121:124], off, off offset:1280
	scratch_load_b128 v[125:128], off, off offset:1296
	;; [unrolled: 1-line block ×9, first 2 shown]
	v_or_b32_e32 v251, 0xc000, v238
	scratch_store_b32 off, v218, off offset:1536 ; 4-byte Folded Spill
	s_waitcnt vmcnt(13)
	v_wmma_f32_16x16x16_f16 v[149:156], v[85:92], v[225:232], v[149:156]
	s_clause 0x1
	scratch_load_b128 v[0:3], off, off offset:832
	scratch_load_b128 v[4:7], off, off offset:848
	s_waitcnt vmcnt(0)
	v_wmma_f32_16x16x16_f16 v[0:7], v[85:92], v[49:56], v[0:7]
	s_clause 0x1
	scratch_store_b128 off, v[0:3], off offset:832
	scratch_store_b128 off, v[4:7], off offset:848
	s_clause 0x2
	scratch_load_b32 v1, off, off offset:1652
	scratch_load_b128 v[41:44], off, off offset:352
	scratch_load_b128 v[45:48], off, off offset:368
	s_waitcnt vmcnt(0)
	v_wmma_f32_16x16x16_f16 v[41:48], v[85:92], v[33:40], v[41:48]
	s_clause 0x1
	scratch_store_b128 off, v[41:44], off offset:352
	scratch_store_b128 off, v[45:48], off offset:368
	s_clause 0x1
	scratch_load_b128 v[41:44], off, off offset:320
	scratch_load_b128 v[45:48], off, off offset:336
	s_waitcnt vmcnt(0)
	v_wmma_f32_16x16x16_f16 v[41:48], v[85:92], v[24:31], v[41:48]
	s_clause 0x3
	scratch_load_b128 v[89:92], off, off offset:800
	scratch_load_b128 v[93:96], off, off offset:816
	;; [unrolled: 1-line block ×4, first 2 shown]
	s_clause 0x1
	scratch_store_b128 off, v[41:44], off offset:320
	scratch_store_b128 off, v[45:48], off offset:336
	s_clause 0x1
	scratch_load_b128 v[41:44], off, off offset:640
	scratch_load_b128 v[45:48], off, off offset:656
	s_waitcnt vmcnt(0)
	v_wmma_f32_16x16x16_f16 v[41:48], v[89:96], v[225:232], v[41:48]
	s_clause 0x1
	scratch_store_b128 off, v[41:44], off offset:640
	scratch_store_b128 off, v[45:48], off offset:656
	s_clause 0x1
	scratch_load_b128 v[41:44], off, off offset:96
	scratch_load_b128 v[45:48], off, off offset:112
	s_waitcnt vmcnt(0)
	v_wmma_f32_16x16x16_f16 v[41:48], v[89:96], v[49:56], v[41:48]
	;; [unrolled: 8-line block ×3, first 2 shown]
	scratch_load_b32 v2, off, off offset:1692 ; 4-byte Folded Reload
	s_clause 0x1
	scratch_store_b128 off, v[41:44], off offset:672
	scratch_store_b128 off, v[45:48], off offset:688
	s_clause 0x1
	scratch_load_b128 v[41:44], off, off offset:128
	scratch_load_b128 v[45:48], off, off offset:144
	s_waitcnt vmcnt(2)
	v_add_nc_u32_e32 v0, v2, v199
	scratch_store_b32 off, v0, off offset:1540 ; 4-byte Folded Spill
	s_waitcnt vmcnt(0)
	v_wmma_f32_16x16x16_f16 v[41:48], v[89:96], v[24:31], v[41:48]
	s_clause 0x1
	scratch_load_b128 v[89:92], off, off offset:1376
	scratch_load_b128 v[93:96], off, off offset:1392
	s_clause 0x1
	scratch_store_b128 off, v[41:44], off offset:128
	scratch_store_b128 off, v[45:48], off offset:144
	s_clause 0x1
	scratch_load_b128 v[41:44], off, off offset:448
	scratch_load_b128 v[45:48], off, off offset:464
	s_waitcnt vmcnt(2)
	v_wmma_f32_16x16x16_f16 v[165:172], v[89:96], v[225:232], v[165:172]
	v_wmma_f32_16x16x16_f16 v[81:88], v[89:96], v[49:56], v[81:88]
	;; [unrolled: 1-line block ×3, first 2 shown]
	buffer_load_b128 v[3:6], v0, s[8:11], 0 offen offset:192
	v_add_nc_u32_e32 v0, v2, v249
	s_clause 0x1
	scratch_store_b128 off, v[165:168], off offset:800
	scratch_store_b128 off, v[169:172], off offset:816
	v_dual_mov_b32 v167, v173 :: v_dual_mov_b32 v168, v174
	v_dual_mov_b32 v169, v175 :: v_dual_mov_b32 v170, v176
	s_clause 0x2
	scratch_load_b128 v[173:176], off, off offset:768
	scratch_load_b128 v[177:180], off, off offset:784
	scratch_load_b32 v249, off, off offset:1680
	s_waitcnt vmcnt(3)
	scratch_store_b128 off, v[3:6], off offset:1556 ; 16-byte Folded Spill
	scratch_load_b128 v[3:6], off, off offset:1424 ; 16-byte Folded Reload
	scratch_store_b32 off, v0, off offset:1424 ; 4-byte Folded Spill
	s_waitcnt vmcnt(0)
	ds_store_b128 v1, v[3:6] offset:16
	buffer_load_b128 v[3:6], v0, s[8:11], 0 offen offset:192
	v_add_nc_u32_e32 v0, v2, v201
	s_clause 0x1
	scratch_load_b128 v[199:202], off, off offset:416
	scratch_load_b128 v[203:206], off, off offset:432
	s_waitcnt vmcnt(2)
	scratch_store_b128 off, v[3:6], off offset:1572 ; 16-byte Folded Spill
	ds_load_2addr_stride64_b64 v[3:6], v105 offset0:32 offset1:33
	s_waitcnt lgkmcnt(0)
	scratch_store_b128 off, v[3:6], off offset:1604 ; 16-byte Folded Spill
	scratch_load_b128 v[3:6], off, off offset:1456 ; 16-byte Folded Reload
	scratch_store_b32 off, v0, off offset:1456 ; 4-byte Folded Spill
	s_waitcnt vmcnt(0)
	ds_store_b128 v1, v[3:6] offset:32
	v_wmma_f32_16x16x16_f16 v[57:64], v[89:96], v[24:31], v[57:64]
	s_clause 0x3
	scratch_load_b128 v[89:92], off, off offset:1344
	scratch_load_b128 v[3:6], off, off offset:384
	;; [unrolled: 1-line block ×4, first 2 shown]
	s_waitcnt vmcnt(0)
	v_wmma_f32_16x16x16_f16 v[3:10], v[89:96], v[225:232], v[3:10]
	s_clause 0x1
	scratch_store_b128 off, v[3:6], off offset:384
	scratch_store_b128 off, v[7:10], off offset:400
	buffer_load_b128 v[3:6], v0, s[8:11], 0 offen offset:192
	v_add_nc_u32_e32 v0, v2, v190
	s_clause 0x1
	scratch_load_b128 v[189:192], off, off offset:736
	scratch_load_b128 v[193:196], off, off offset:752
	scratch_store_b32 off, v0, off offset:1344 ; 4-byte Folded Spill
	s_waitcnt vmcnt(2)
	scratch_store_b128 off, v[3:6], off offset:1588 ; 16-byte Folded Spill
	s_clause 0x1
	scratch_load_b128 v[3:6], off, off offset:576
	scratch_load_b128 v[7:10], off, off offset:592
	s_waitcnt vmcnt(2)
	v_wmma_f32_16x16x16_f16 v[189:196], v[121:128], v[225:232], v[189:196]
	ds_store_b128 v1, v[145:148]
	scratch_load_b128 v[145:148], off, off offset:1440 ; 16-byte Folded Reload
	s_waitcnt vmcnt(1)
	v_wmma_f32_16x16x16_f16 v[3:10], v[89:96], v[24:31], v[3:10]
	v_wmma_f32_16x16x16_f16 v[157:164], v[89:96], v[49:56], v[157:164]
	;; [unrolled: 1-line block ×3, first 2 shown]
	s_clause 0x1
	scratch_load_b128 v[94:97], off, off offset:960
	scratch_load_b128 v[98:101], off, off offset:976
	s_clause 0x1
	scratch_store_b128 off, v[3:6], off offset:576
	scratch_store_b128 off, v[7:10], off offset:592
	scratch_load_b128 v[3:6], off, off offset:1472 ; 16-byte Folded Reload
	v_subrev_nc_u32_e32 v93, 64, v0
	s_waitcnt vmcnt(1)
	v_wmma_f32_16x16x16_f16 v[207:214], v[94:101], v[24:31], v[207:214]
	s_waitcnt vmcnt(0)
	ds_store_b128 v1, v[3:6] offset:48
	buffer_load_b128 v[0:3], v93, s[8:11], 0 offen
	v_wmma_f32_16x16x16_f16 v[199:206], v[94:101], v[225:232], v[199:206]
	v_wmma_f32_16x16x16_f16 v[41:48], v[94:101], v[49:56], v[41:48]
	v_perm_b32 v93, v145, v106, 0x5040100
	s_waitcnt vmcnt(0)
	scratch_store_b128 off, v[0:3], off offset:1376 ; 16-byte Folded Spill
	s_clause 0x1
	scratch_load_b128 v[0:3], off, off offset:224
	scratch_load_b128 v[4:7], off, off offset:240
	s_waitcnt vmcnt(0)
	v_wmma_f32_16x16x16_f16 v[0:7], v[94:101], v[33:40], v[0:7]
	s_clause 0x1
	scratch_load_b128 v[97:100], off, off offset:288
	scratch_load_b128 v[101:104], off, off offset:304
	v_perm_b32 v95, v145, v106, 0x7060302
	s_clause 0x1
	scratch_store_b128 off, v[0:3], off offset:224
	scratch_store_b128 off, v[4:7], off offset:240
	s_clause 0x2
	scratch_load_b128 v[1:4], off, off offset:1312
	scratch_load_b128 v[5:8], off, off offset:1328
	scratch_load_b32 v0, off, off offset:1656
	s_waitcnt vmcnt(1)
	v_wmma_f32_16x16x16_f16 v[97:104], v[1:8], v[225:232], v[97:104]
	v_wmma_f32_16x16x16_f16 v[129:136], v[1:8], v[49:56], v[129:136]
	;; [unrolled: 1-line block ×3, first 2 shown]
	scratch_load_b128 v[221:224], off, off offset:1488 ; 16-byte Folded Reload
	s_clause 0x1
	scratch_store_b128 off, v[97:100], off offset:288
	scratch_store_b128 off, v[101:104], off offset:304
	v_perm_b32 v97, v146, v107, 0x5040100
	v_perm_b32 v99, v146, v107, 0x7060302
	ds_load_b128 v[101:104], v247 offset:12800
	s_waitcnt vmcnt(0)
	v_perm_b32 v94, v221, v167, 0x5040100
	v_perm_b32 v96, v221, v167, 0x7060302
	;; [unrolled: 1-line block ×5, first 2 shown]
	ds_store_b128 v0, v[93:96] offset:16384
	v_wmma_f32_16x16x16_f16 v[173:180], v[1:8], v[24:31], v[173:180]
	s_clause 0x2
	scratch_load_b128 v[0:3], off, off offset:256
	scratch_load_b128 v[4:7], off, off offset:272
	scratch_load_b32 v8, off, off offset:1660
	v_add_nc_u32_e32 v93, v249, v219
	s_waitcnt vmcnt(1)
	v_wmma_f32_16x16x16_f16 v[0:7], v[121:128], v[49:56], v[0:7]
	s_clause 0x1
	scratch_store_b128 off, v[0:3], off offset:256
	scratch_store_b128 off, v[4:7], off offset:272
	s_clause 0x1
	scratch_load_b128 v[0:3], off, off
	scratch_load_b128 v[4:7], off, off offset:16
	s_waitcnt vmcnt(0)
	v_wmma_f32_16x16x16_f16 v[0:7], v[121:128], v[33:40], v[0:7]
	s_clause 0x1
	scratch_store_b128 off, v[0:3], off
	scratch_store_b128 off, v[4:7], off offset:16
	s_clause 0x1
	scratch_load_b128 v[0:3], off, off offset:160
	scratch_load_b128 v[4:7], off, off offset:176
	s_waitcnt vmcnt(0)
	v_wmma_f32_16x16x16_f16 v[0:7], v[121:128], v[24:31], v[0:7]
	s_clause 0x1
	scratch_load_b128 v[121:124], off, off offset:1248
	scratch_load_b128 v[125:128], off, off offset:1264
	s_clause 0x1
	scratch_store_b128 off, v[0:3], off offset:160
	scratch_store_b128 off, v[4:7], off offset:176
	s_clause 0x1
	scratch_load_b128 v[0:3], off, off offset:64
	scratch_load_b128 v[4:7], off, off offset:80
	s_waitcnt vmcnt(0)
	v_wmma_f32_16x16x16_f16 v[0:7], v[121:128], v[225:232], v[0:7]
	ds_load_b128 v[225:228], v247 offset:10240
	ds_load_b128 v[229:232], v247 offset:14336
	s_clause 0x1
	scratch_store_b128 off, v[0:3], off offset:64
	scratch_store_b128 off, v[4:7], off offset:80
	s_clause 0x1
	scratch_load_b128 v[0:3], off, off offset:192
	scratch_load_b128 v[4:7], off, off offset:208
	s_waitcnt vmcnt(0)
	v_wmma_f32_16x16x16_f16 v[0:7], v[121:128], v[49:56], v[0:7]
	s_clause 0x1
	scratch_load_b128 v[49:52], off, off offset:928
	scratch_load_b128 v[53:56], off, off offset:944
	s_clause 0x1
	scratch_store_b128 off, v[0:3], off offset:192
	scratch_store_b128 off, v[4:7], off offset:208
	s_clause 0x1
	scratch_load_b128 v[0:3], off, off offset:32
	scratch_load_b128 v[4:7], off, off offset:48
	s_waitcnt vmcnt(2)
	v_wmma_f32_16x16x16_f16 v[49:56], v[121:128], v[24:31], v[49:56]
	v_perm_b32 v29, v148, v109, 0x5040100
	v_perm_b32 v31, v148, v109, 0x7060302
	;; [unrolled: 1-line block ×7, first 2 shown]
	ds_store_b128 v8, v[29:32] offset:48
	s_waitcnt vmcnt(0)
	v_wmma_f32_16x16x16_f16 v[0:7], v[121:128], v[33:40], v[0:7]
	s_clause 0x1
	scratch_load_b128 v[33:36], off, off offset:832
	scratch_load_b128 v[37:40], off, off offset:848
	ds_load_b128 v[121:124], v247 offset:3584
	ds_load_b128 v[125:128], v247 offset:7680
	s_clause 0x1
	scratch_store_b128 off, v[0:3], off offset:32
	scratch_store_b128 off, v[4:7], off offset:48
	s_clause 0x1
	scratch_load_b128 v[0:3], off, off offset:1216
	scratch_load_b128 v[4:7], off, off offset:1232
	s_waitcnt vmcnt(0)
	v_nop
	v_wmma_f32_16x16x16_f16 v[33:40], v[0:7], v[16:23], v[33:40]
	s_clause 0x1
	scratch_store_b128 off, v[33:36], off offset:832
	scratch_store_b128 off, v[37:40], off offset:848
	s_clause 0x1
	scratch_load_b128 v[33:36], off, off offset:352
	scratch_load_b128 v[37:40], off, off offset:368
	s_waitcnt vmcnt(0)
	v_wmma_f32_16x16x16_f16 v[33:40], v[0:7], v[137:144], v[33:40]
	s_clause 0x1
	scratch_store_b128 off, v[33:36], off offset:352
	scratch_store_b128 off, v[37:40], off offset:368
	s_clause 0x1
	scratch_load_b128 v[33:36], off, off offset:320
	scratch_load_b128 v[37:40], off, off offset:336
	s_waitcnt vmcnt(0)
	v_wmma_f32_16x16x16_f16 v[33:40], v[0:7], v[73:80], v[33:40]
	ds_store_b128 v8, v[25:28] offset:32
	v_wmma_f32_16x16x16_f16 v[149:156], v[0:7], v[113:120], v[149:156]
	ds_store_b128 v8, v[97:100] offset:16
	ds_load_2addr_stride64_b64 v[9:12], v251 offset0:8 offset1:9
	s_clause 0x1
	scratch_load_b128 v[0:3], off, off offset:1184
	scratch_load_b128 v[4:7], off, off offset:1200
	s_clause 0x1
	scratch_store_b128 off, v[33:36], off offset:320
	scratch_store_b128 off, v[37:40], off offset:336
	s_clause 0x1
	scratch_load_b128 v[33:36], off, off offset:640
	scratch_load_b128 v[37:40], off, off offset:656
	v_add_nc_u32_e32 v25, v249, v233
	s_clause 0x1
	scratch_store_b128 off, v[149:152], off offset:864
	scratch_store_b128 off, v[153:156], off offset:880
	v_add_nc_u32_e32 v97, v249, v218
	s_waitcnt lgkmcnt(0)
	scratch_store_b128 off, v[9:12], off offset:896 ; 16-byte Folded Spill
	s_clause 0x1
	scratch_load_b128 v[8:11], off, off offset:96
	scratch_load_b128 v[12:15], off, off offset:112
	buffer_load_b128 v[217:220], v25, s[12:15], 0 offen
	v_add_nc_u32_e32 v25, v249, v216
	s_clause 0x1
	buffer_load_b128 v[234:237], v93, s[12:15], 0 offen
	buffer_load_b128 v[252:255], v97, s[12:15], 0 offen
	ds_load_b128 v[97:100], v247 offset:8704
	s_waitcnt vmcnt(3)
	v_wmma_f32_16x16x16_f16 v[8:15], v[0:7], v[16:23], v[8:15]
	s_clause 0x1
	scratch_store_b128 off, v[8:11], off offset:96
	scratch_store_b128 off, v[12:15], off offset:112
	s_clause 0x1
	scratch_load_b128 v[8:11], off, off offset:672
	scratch_load_b128 v[12:15], off, off offset:688
	s_waitcnt vmcnt(0)
	v_wmma_f32_16x16x16_f16 v[8:15], v[0:7], v[137:144], v[8:15]
	s_clause 0x1
	scratch_store_b128 off, v[8:11], off offset:672
	scratch_store_b128 off, v[12:15], off offset:688
	s_clause 0x1
	scratch_load_b128 v[8:11], off, off offset:128
	scratch_load_b128 v[12:15], off, off offset:144
	s_waitcnt vmcnt(0)
	v_wmma_f32_16x16x16_f16 v[8:15], v[0:7], v[73:80], v[8:15]
	v_wmma_f32_16x16x16_f16 v[33:40], v[0:7], v[113:120], v[33:40]
	s_clause 0x1
	scratch_load_b128 v[0:3], off, off offset:384
	scratch_load_b128 v[4:7], off, off offset:400
	s_clause 0x2
	scratch_store_b128 off, v[8:11], off offset:128
	scratch_store_b128 off, v[33:36], off offset:640
	;; [unrolled: 1-line block ×3, first 2 shown]
	buffer_load_b128 v[145:148], v25, s[12:15], 0 offen
	s_clause 0x3
	scratch_load_b128 v[25:28], off, off offset:800
	scratch_load_b128 v[33:36], off, off offset:1120
	;; [unrolled: 1-line block ×4, first 2 shown]
	scratch_store_b128 off, v[12:15], off offset:144 ; 16-byte Folded Spill
	s_clause 0x1
	scratch_load_b128 v[8:11], off, off offset:192
	scratch_load_b128 v[12:15], off, off offset:208
	s_waitcnt vmcnt(2)
	v_nop
	v_wmma_f32_16x16x16_f16 v[25:32], v[33:40], v[113:120], v[25:32]
	s_clause 0x1
	scratch_store_b128 off, v[25:28], off offset:800
	scratch_store_b128 off, v[29:32], off offset:816
	s_clause 0x1
	scratch_load_b128 v[25:28], off, off offset:992
	scratch_load_b128 v[29:32], off, off offset:1008
	s_waitcnt vmcnt(0)
	v_nop
	v_wmma_f32_16x16x16_f16 v[0:7], v[25:32], v[113:120], v[0:7]
	s_clause 0x1
	scratch_store_b128 off, v[0:3], off offset:384
	scratch_store_b128 off, v[4:7], off offset:400
	s_clause 0x1
	scratch_load_b128 v[0:3], off, off offset:576
	scratch_load_b128 v[4:7], off, off offset:592
	s_waitcnt vmcnt(0)
	v_wmma_f32_16x16x16_f16 v[0:7], v[25:32], v[73:80], v[0:7]
	v_wmma_f32_16x16x16_f16 v[65:72], v[33:40], v[137:144], v[65:72]
	;; [unrolled: 1-line block ×6, first 2 shown]
	s_clause 0x3
	scratch_load_b128 v[33:36], off, off offset:1088
	scratch_load_b128 v[25:28], off, off offset:224
	;; [unrolled: 1-line block ×4, first 2 shown]
	s_clause 0x1
	scratch_store_b128 off, v[0:3], off offset:576
	scratch_store_b128 off, v[4:7], off offset:592
	s_clause 0x1
	scratch_load_b128 v[0:3], off, off offset:288
	scratch_load_b128 v[4:7], off, off offset:304
	s_clause 0x2
	scratch_store_b128 off, v[157:160], off offset:480
	scratch_store_b128 off, v[65:68], off offset:544
	;; [unrolled: 1-line block ×3, first 2 shown]
	v_mov_b32_e32 v157, v239
	s_clause 0x4
	scratch_store_b128 off, v[81:84], off offset:608
	scratch_store_b128 off, v[85:88], off offset:624
	;; [unrolled: 1-line block ×5, first 2 shown]
	v_dual_mov_b32 v158, v240 :: v_dual_mov_b32 v159, v241
	v_dual_mov_b32 v160, v242 :: v_dual_mov_b32 v161, v243
	;; [unrolled: 1-line block ×4, first 2 shown]
	s_waitcnt vmcnt(2)
	v_wmma_f32_16x16x16_f16 v[25:32], v[33:40], v[137:144], v[25:32]
	s_clause 0x1
	scratch_store_b128 off, v[25:28], off offset:224
	scratch_store_b128 off, v[29:32], off offset:240
	s_clause 0x1
	scratch_load_b128 v[25:28], off, off offset:1056
	scratch_load_b128 v[29:32], off, off offset:1072
	s_waitcnt vmcnt(0)
	v_nop
	v_wmma_f32_16x16x16_f16 v[181:188], v[25:32], v[137:144], v[181:188]
	v_wmma_f32_16x16x16_f16 v[173:180], v[25:32], v[73:80], v[173:180]
	;; [unrolled: 1-line block ×7, first 2 shown]
	s_clause 0x3
	scratch_load_b128 v[33:36], off, off offset:1024
	scratch_load_b128 v[25:28], off, off offset:256
	;; [unrolled: 1-line block ×4, first 2 shown]
	s_clause 0x1
	scratch_store_b128 off, v[0:3], off offset:288
	scratch_store_b128 off, v[4:7], off offset:304
	s_clause 0x1
	scratch_load_b128 v[0:3], off, off offset:64
	scratch_load_b128 v[4:7], off, off offset:80
	s_clause 0x8
	scratch_store_b128 off, v[199:202], off offset:416
	scratch_store_b128 off, v[129:132], off offset:704
	;; [unrolled: 1-line block ×9, first 2 shown]
	ds_load_b128 v[181:184], v247 offset:5120
	ds_load_b128 v[185:188], v247 offset:1536
	;; [unrolled: 1-line block ×6, first 2 shown]
	scratch_store_b128 off, v[211:214], off offset:1008 ; 16-byte Folded Spill
	ds_load_b128 v[177:180], v247 offset:1024
	ds_load_b128 v[205:208], v247 offset:6656
	s_clause 0x1
	scratch_store_b128 off, v[41:44], off offset:448
	scratch_store_b128 off, v[45:48], off offset:464
	s_waitcnt vmcnt(2)
	v_wmma_f32_16x16x16_f16 v[25:32], v[33:40], v[16:23], v[25:32]
	s_clause 0x1
	scratch_store_b128 off, v[25:28], off offset:256
	scratch_store_b128 off, v[29:32], off offset:272
	s_clause 0x1
	scratch_load_b128 v[25:28], off, off
	scratch_load_b128 v[29:32], off, off offset:16
	s_waitcnt vmcnt(0)
	v_wmma_f32_16x16x16_f16 v[25:32], v[33:40], v[137:144], v[25:32]
	s_clause 0x1
	scratch_store_b128 off, v[25:28], off
	scratch_store_b128 off, v[29:32], off offset:16
	s_clause 0x1
	scratch_load_b128 v[25:28], off, off offset:160
	scratch_load_b128 v[29:32], off, off offset:176
	s_waitcnt vmcnt(0)
	v_wmma_f32_16x16x16_f16 v[25:32], v[33:40], v[73:80], v[25:32]
	v_wmma_f32_16x16x16_f16 v[189:196], v[33:40], v[113:120], v[189:196]
	ds_load_2addr_stride64_b64 v[109:112], v251 offset0:14 offset1:15
	ds_load_b128 v[173:176], v247 offset:4608
	ds_load_b128 v[169:172], v247 offset:512
	s_clause 0x1
	scratch_store_b128 off, v[25:28], off offset:160
	scratch_store_b128 off, v[29:32], off offset:176
	s_clause 0x1
	scratch_load_b128 v[24:27], off, off offset:1620
	scratch_load_b128 v[28:31], off, off offset:1636
	scratch_store_b128 off, v[189:192], off offset:736 ; 16-byte Folded Spill
	ds_load_2addr_stride64_b64 v[221:224], v251 offset0:10 offset1:11
	ds_load_2addr_stride64_b64 v[165:168], v105 offset0:34 offset1:35
	;; [unrolled: 1-line block ×5, first 2 shown]
	scratch_store_b128 off, v[193:196], off offset:752 ; 16-byte Folded Spill
	ds_load_b128 v[189:192], v247 offset:5632
	ds_load_b128 v[193:196], v247 offset:2048
	; sched_group_barrier mask(0x00000008) size(1) SyncID(0)
	; sched_group_barrier mask(0x00000100) size(1) SyncID(0)
	;; [unrolled: 1-line block ×84, first 2 shown]
	s_waitcnt vmcnt(0)
	v_wmma_f32_16x16x16_f16 v[8:15], v[24:31], v[16:23], v[8:15]
	v_wmma_f32_16x16x16_f16 v[0:7], v[24:31], v[113:120], v[0:7]
	;; [unrolled: 1-line block ×3, first 2 shown]
	ds_load_b128 v[113:116], v247 offset:8192
	ds_load_b128 v[117:120], v247 offset:12288
	s_clause 0x1
	scratch_store_b128 off, v[8:11], off offset:192
	scratch_store_b128 off, v[12:15], off offset:208
	s_clause 0x1
	scratch_load_b128 v[8:11], off, off offset:32
	scratch_load_b128 v[12:15], off, off offset:48
	s_clause 0x1
	scratch_store_b128 off, v[0:3], off offset:64
	scratch_store_b128 off, v[4:7], off offset:80
	ds_load_b128 v[0:3], v247 offset:10752
	ds_load_b128 v[4:7], v247 offset:14848
	s_clause 0x1
	scratch_store_b128 off, v[49:52], off offset:928
	scratch_store_b128 off, v[53:56], off offset:944
	ds_load_b128 v[73:76], v247 offset:9216
	ds_load_b128 v[77:80], v247 offset:13312
	;; [unrolled: 1-line block ×4, first 2 shown]
	ds_load_2addr_stride64_b64 v[17:20], v251 offset0:20 offset1:21
	s_waitcnt lgkmcnt(5)
	s_clause 0x1
	scratch_store_b128 off, v[0:3], off offset:1088
	scratch_store_b128 off, v[4:7], off offset:1104
	ds_load_b128 v[0:3], v247 offset:11264
	ds_load_b128 v[4:7], v247 offset:15360
	s_waitcnt lgkmcnt(0)
	s_clause 0x1
	scratch_store_b128 off, v[0:3], off offset:1056
	scratch_store_b128 off, v[4:7], off offset:1072
	ds_load_b128 v[0:3], v247 offset:11776
	ds_load_b128 v[4:7], v247 offset:15872
	s_waitcnt lgkmcnt(0)
	s_clause 0x1
	scratch_store_b128 off, v[0:3], off offset:1024
	scratch_store_b128 off, v[4:7], off offset:1040
	s_waitcnt vmcnt(0)
	v_wmma_f32_16x16x16_f16 v[8:15], v[24:31], v[137:144], v[8:15]
	ds_load_2addr_stride64_b64 v[21:24], v251 offset0:28 offset1:29
	ds_load_2addr_stride64_b64 v[137:140], v251 offset0:16 offset1:17
	;; [unrolled: 1-line block ×4, first 2 shown]
	s_clause 0x1
	scratch_store_b128 off, v[8:11], off offset:32
	scratch_store_b128 off, v[12:15], off offset:48
	ds_load_2addr_stride64_b64 v[9:12], v251 offset0:22 offset1:23
	ds_load_2addr_stride64_b64 v[13:16], v251 offset0:30 offset1:31
	;; [unrolled: 1-line block ×3, first 2 shown]
	; sched_barrier mask(0x00000000)
	v_dual_mov_b32 v149, v165 :: v_dual_mov_b32 v150, v166
	v_dual_mov_b32 v151, v105 :: v_dual_mov_b32 v152, v106
	;; [unrolled: 1-line block ×6, first 2 shown]
	s_delay_alu instid0(VALU_DEP_3)
	v_wmma_f32_16x16x16_f16 v[157:164], v[185:192], v[149:156], v[157:164]
	scratch_load_b128 v[0:3], off, off offset:1604 ; 16-byte Folded Reload
	v_dual_mov_b32 v105, v167 :: v_dual_mov_b32 v106, v168
	v_dual_mov_b32 v109, v223 :: v_dual_mov_b32 v110, v224
	v_mov_b32_e32 v61, v233
	; sched_group_barrier mask(0x00000008) size(1) SyncID(0)
	s_waitcnt vmcnt(0)
	v_dual_mov_b32 v209, v0 :: v_dual_mov_b32 v210, v1
	v_dual_mov_b32 v89, v2 :: v_dual_mov_b32 v90, v3
	s_clause 0x1
	scratch_load_b128 v[0:3], off, off offset:896
	scratch_load_b32 v70, off, off offset:1504
	s_waitcnt vmcnt(0) lgkmcnt(0)
	s_waitcnt_vscnt null, 0x0
	s_barrier
	scratch_store_b128 off, v[157:160], off offset:896 ; 16-byte Folded Spill
	s_clause 0x1
	scratch_load_b128 v[81:84], off, off offset:800
	scratch_load_b128 v[239:242], off, off offset:384
	scratch_store_b128 off, v[161:164], off offset:912 ; 16-byte Folded Spill
	s_clause 0x3
	scratch_load_b128 v[157:160], off, off offset:576
	scratch_load_b128 v[85:88], off, off offset:816
	;; [unrolled: 1-line block ×4, first 2 shown]
	v_dual_mov_b32 v213, v0 :: v_dual_mov_b32 v214, v1
	v_dual_mov_b32 v93, v2 :: v_dual_mov_b32 v94, v3
	s_waitcnt vmcnt(2)
	s_delay_alu instid0(VALU_DEP_2)
	v_wmma_f32_16x16x16_f16 v[81:88], v[177:184], v[209:216], v[81:88]
	s_waitcnt vmcnt(1)
	v_wmma_f32_16x16x16_f16 v[239:246], v[185:192], v[209:216], v[239:246]
	s_waitcnt vmcnt(0)
	v_wmma_f32_16x16x16_f16 v[157:164], v[185:192], v[105:112], v[157:164]
	s_clause 0x3
	scratch_load_b128 v[0:3], off, off offset:864
	scratch_load_b128 v[4:7], off, off offset:880
	scratch_load_b128 v[41:44], off, off offset:1152
	scratch_load_b128 v[45:48], off, off offset:1168
	s_clause 0x1
	scratch_store_b128 off, v[81:84], off offset:800
	scratch_store_b128 off, v[85:88], off offset:816
	v_perm_b32 v85, v252, v234, 0x5040100
	v_perm_b32 v87, v252, v234, 0x7060302
	;; [unrolled: 1-line block ×4, first 2 shown]
	s_waitcnt vmcnt(0)
	v_wmma_f32_16x16x16_f16 v[0:7], v[41:48], v[209:216], v[0:7]
	s_clause 0x1
	scratch_store_b128 off, v[0:3], off offset:864
	scratch_store_b128 off, v[4:7], off offset:880
	ds_load_b128 v[0:3], v248
	s_clause 0x1
	scratch_load_b32 v8, off, off offset:1668
	scratch_load_b128 v[4:7], off, off offset:1556
	s_waitcnt vmcnt(0)
	ds_store_b128 v8, v[4:7]
	s_clause 0x2
	scratch_load_b128 v[33:36], off, off offset:352
	scratch_load_b128 v[37:40], off, off offset:368
	scratch_load_b32 v4, off, off offset:1540
	s_waitcnt vmcnt(1)
	v_wmma_f32_16x16x16_f16 v[33:40], v[41:48], v[149:156], v[33:40]
	s_clause 0x1
	scratch_store_b128 off, v[33:36], off offset:352
	scratch_store_b128 off, v[37:40], off offset:368
	s_waitcnt vmcnt(0)
	buffer_load_b128 v[57:60], v4, s[8:11], 0 offen offset:256
	ds_load_b128 v[4:7], v248 offset:4096
	s_waitcnt lgkmcnt(0)
	s_clause 0x1
	scratch_store_b128 off, v[0:3], off offset:1152
	scratch_store_b128 off, v[4:7], off offset:1168
	s_clause 0x2
	scratch_load_b128 v[0:3], off, off offset:1572
	scratch_load_b128 v[33:36], off, off offset:320
	;; [unrolled: 1-line block ×3, first 2 shown]
	s_waitcnt vmcnt(2)
	ds_store_b128 v8, v[0:3] offset:16
	s_clause 0x1
	scratch_load_b128 v[0:3], off, off offset:128
	scratch_load_b128 v[4:7], off, off offset:144
	s_waitcnt vmcnt(0)
	v_wmma_f32_16x16x16_f16 v[0:7], v[169:176], v[105:112], v[0:7]
	v_wmma_f32_16x16x16_f16 v[33:40], v[41:48], v[105:112], v[33:40]
	s_clause 0x2
	scratch_store_b128 off, v[0:3], off offset:128
	scratch_store_b128 off, v[33:36], off offset:320
	;; [unrolled: 1-line block ×3, first 2 shown]
	s_clause 0x1
	scratch_load_b128 v[33:36], off, off offset:96
	scratch_load_b128 v[37:40], off, off offset:112
	scratch_store_b128 off, v[4:7], off offset:144 ; 16-byte Folded Spill
	scratch_load_b32 v0, off, off offset:1424 ; 4-byte Folded Reload
	s_waitcnt vmcnt(1)
	v_wmma_f32_16x16x16_f16 v[33:40], v[169:176], v[89:96], v[33:40]
	s_clause 0x1
	scratch_store_b128 off, v[33:36], off offset:96
	scratch_store_b128 off, v[37:40], off offset:112
	s_waitcnt vmcnt(0)
	buffer_load_b128 v[0:3], v0, s[8:11], 0 offen offset:256
	s_clause 0x1
	scratch_load_b128 v[33:36], off, off offset:672
	scratch_load_b128 v[37:40], off, off offset:688
	s_waitcnt vmcnt(2)
	scratch_store_b128 off, v[0:3], off offset:1424 ; 16-byte Folded Spill
	s_clause 0x1
	scratch_load_b128 v[0:3], off, off offset:608
	scratch_load_b128 v[4:7], off, off offset:624
	s_waitcnt vmcnt(0)
	v_wmma_f32_16x16x16_f16 v[0:7], v[177:184], v[89:96], v[0:7]
	s_clause 0x1
	scratch_store_b128 off, v[0:3], off offset:608
	scratch_store_b128 off, v[4:7], off offset:624
	s_clause 0x1
	scratch_load_b128 v[0:3], off, off offset:544
	scratch_load_b128 v[4:7], off, off offset:560
	s_waitcnt vmcnt(0)
	v_wmma_f32_16x16x16_f16 v[0:7], v[177:184], v[149:156], v[0:7]
	s_clause 0x1
	scratch_store_b128 off, v[0:3], off offset:544
	scratch_store_b128 off, v[4:7], off offset:560
	ds_load_2addr_stride64_b64 v[0:3], v238 offset0:32 offset1:33
	s_waitcnt lgkmcnt(0)
	scratch_store_b128 off, v[0:3], off offset:1540 ; 16-byte Folded Spill
	s_clause 0x1
	scratch_load_b128 v[0:3], off, off offset:512
	scratch_load_b128 v[4:7], off, off offset:528
	s_waitcnt vmcnt(0)
	v_wmma_f32_16x16x16_f16 v[0:7], v[177:184], v[105:112], v[0:7]
	s_clause 0x1
	scratch_load_b128 v[177:180], off, off offset:992
	scratch_load_b128 v[181:184], off, off offset:1008
	s_clause 0x1
	scratch_store_b128 off, v[0:3], off offset:512
	scratch_store_b128 off, v[4:7], off offset:528
	scratch_load_b128 v[0:3], off, off offset:1588 ; 16-byte Folded Reload
	s_waitcnt vmcnt(0)
	ds_store_b128 v8, v[0:3] offset:32
	scratch_load_b32 v0, off, off offset:1456 ; 4-byte Folded Reload
	s_waitcnt vmcnt(0)
	buffer_load_b128 v[0:3], v0, s[8:11], 0 offen offset:256
	s_waitcnt vmcnt(0)
	scratch_store_b128 off, v[0:3], off offset:1456 ; 16-byte Folded Spill
	s_clause 0x1
	scratch_load_b128 v[0:3], off, off offset:480
	scratch_load_b128 v[4:7], off, off offset:496
	s_waitcnt vmcnt(0)
	v_wmma_f32_16x16x16_f16 v[0:7], v[185:192], v[89:96], v[0:7]
	s_clause 0x1
	scratch_load_b32 v190, off, off offset:1512
	scratch_load_b32 v189, off, off offset:1688
	s_clause 0x1
	scratch_store_b128 off, v[0:3], off offset:480
	scratch_store_b128 off, v[4:7], off offset:496
	s_clause 0x1
	scratch_load_b128 v[0:3], off, off offset:416
	scratch_load_b128 v[4:7], off, off offset:432
	s_waitcnt vmcnt(0)
	v_wmma_f32_16x16x16_f16 v[0:7], v[193:200], v[209:216], v[0:7]
	s_clause 0x1
	scratch_store_b128 off, v[0:3], off offset:416
	scratch_store_b128 off, v[4:7], off offset:432
	scratch_load_b128 v[0:3], off, off offset:1376 ; 16-byte Folded Reload
	s_waitcnt vmcnt(0)
	ds_store_b128 v8, v[0:3] offset:48
	s_clause 0x2
	scratch_load_b32 v8, off, off offset:1672
	scratch_load_b128 v[0:3], off, off offset:448
	scratch_load_b128 v[4:7], off, off offset:464
	s_waitcnt vmcnt(2)
	ds_store_b128 v8, v[85:88] offset:16384
	s_clause 0x1
	scratch_load_b128 v[62:65], off, off offset:832
	scratch_load_b128 v[66:69], off, off offset:848
	v_add_nc_u32_e32 v85, v249, v250
	scratch_load_b32 v8, off, off offset:1676 ; 4-byte Folded Reload
	s_waitcnt vmcnt(1)
	v_wmma_f32_16x16x16_f16 v[62:69], v[41:48], v[89:96], v[62:69]
	s_clause 0x1
	scratch_load_b128 v[41:44], off, off offset:640
	scratch_load_b128 v[45:48], off, off offset:656
	v_wmma_f32_16x16x16_f16 v[33:40], v[169:176], v[149:156], v[33:40]
	s_waitcnt vmcnt(0)
	v_wmma_f32_16x16x16_f16 v[41:48], v[169:176], v[209:216], v[41:48]
	s_clause 0x1
	scratch_load_b128 v[165:168], off, off offset:224
	scratch_load_b128 v[169:172], off, off offset:240
	s_waitcnt vmcnt(0)
	v_wmma_f32_16x16x16_f16 v[165:172], v[193:200], v[149:156], v[165:172]
	s_clause 0x1
	scratch_store_b128 off, v[165:168], off offset:224
	scratch_store_b128 off, v[169:172], off offset:240
	s_clause 0x1
	scratch_load_b128 v[165:168], off, off offset:704
	scratch_load_b128 v[169:172], off, off offset:720
	s_waitcnt vmcnt(0)
	v_wmma_f32_16x16x16_f16 v[165:172], v[201:208], v[89:96], v[165:172]
	v_wmma_f32_16x16x16_f16 v[0:7], v[193:200], v[89:96], v[0:7]
	s_clause 0x2
	scratch_store_b128 off, v[165:168], off offset:704
	scratch_store_b128 off, v[0:3], off offset:448
	;; [unrolled: 1-line block ×3, first 2 shown]
	scratch_load_b32 v0, off, off offset:1344 ; 4-byte Folded Reload
	scratch_store_b128 off, v[169:172], off offset:720 ; 16-byte Folded Spill
	s_clause 0x1
	scratch_load_b128 v[165:168], off, off offset:768
	scratch_load_b128 v[169:172], off, off offset:784
	s_waitcnt vmcnt(2)
	buffer_load_b128 v[0:3], v0, s[8:11], 0 offen
	s_waitcnt vmcnt(0)
	scratch_store_b128 off, v[0:3], off offset:1472 ; 16-byte Folded Spill
	s_clause 0x1
	scratch_load_b128 v[0:3], off, off offset:288
	scratch_load_b128 v[4:7], off, off offset:304
	s_waitcnt vmcnt(0)
	v_wmma_f32_16x16x16_f16 v[0:7], v[201:208], v[209:216], v[0:7]
	s_clause 0x1
	scratch_store_b128 off, v[0:3], off offset:288
	scratch_store_b128 off, v[4:7], off offset:304
	buffer_load_b128 v[0:3], v85, s[12:15], 0 offen
	s_waitcnt vmcnt(0)
	scratch_store_b128 off, v[0:3], off offset:1408 ; 16-byte Folded Spill
	s_clause 0x1
	scratch_load_b128 v[0:3], off, off offset:160
	scratch_load_b128 v[4:7], off, off offset:176
	s_waitcnt vmcnt(0)
	v_wmma_f32_16x16x16_f16 v[0:7], v[129:136], v[105:112], v[0:7]
	v_wmma_f32_16x16x16_f16 v[165:172], v[201:208], v[105:112], v[165:172]
	s_clause 0x2
	scratch_store_b128 off, v[0:3], off offset:160
	scratch_store_b128 off, v[165:168], off offset:768
	;; [unrolled: 1-line block ×3, first 2 shown]
	s_clause 0x1
	scratch_load_b128 v[169:172], off, off offset:736
	scratch_load_b128 v[173:176], off, off offset:752
	scratch_store_b128 off, v[4:7], off offset:176 ; 16-byte Folded Spill
	v_perm_b32 v165, v253, v235, 0x5040100
	v_perm_b32 v167, v253, v235, 0x7060302
	;; [unrolled: 1-line block ×4, first 2 shown]
	s_waitcnt vmcnt(0)
	v_wmma_f32_16x16x16_f16 v[169:176], v[129:136], v[209:216], v[169:176]
	s_clause 0x1
	scratch_store_b128 off, v[169:172], off offset:736
	scratch_store_b128 off, v[173:176], off offset:752
	s_clause 0x1
	scratch_load_b128 v[169:172], off, off offset:256
	scratch_load_b128 v[173:176], off, off offset:272
	s_waitcnt vmcnt(0)
	v_wmma_f32_16x16x16_f16 v[169:176], v[129:136], v[89:96], v[169:176]
	s_clause 0x1
	scratch_store_b128 off, v[169:172], off offset:256
	scratch_store_b128 off, v[173:176], off offset:272
	s_clause 0x1
	scratch_load_b128 v[169:172], off, off
	scratch_load_b128 v[173:176], off, off offset:16
	s_waitcnt vmcnt(0)
	v_wmma_f32_16x16x16_f16 v[169:176], v[129:136], v[149:156], v[169:176]
	v_add_nc_u32_e32 v129, v249, v70
	s_clause 0x1
	scratch_store_b128 off, v[169:172], off
	scratch_store_b128 off, v[173:176], off offset:16
	buffer_load_b128 v[0:3], v129, s[12:15], 0 offen
	s_clause 0x1
	scratch_load_b128 v[129:132], off, off offset:928
	scratch_load_b128 v[133:136], off, off offset:944
	s_waitcnt vmcnt(2)
	scratch_store_b128 off, v[0:3], off offset:1440 ; 16-byte Folded Spill
	s_clause 0x1
	scratch_load_b128 v[0:3], off, off offset:64
	scratch_load_b128 v[4:7], off, off offset:80
	s_waitcnt vmcnt(2)
	v_wmma_f32_16x16x16_f16 v[129:136], v[121:128], v[105:112], v[129:136]
	v_wmma_f32_16x16x16_f16 v[177:184], v[193:200], v[105:112], v[177:184]
	v_perm_b32 v109, v255, v237, 0x5040100
	v_perm_b32 v111, v255, v237, 0x7060302
	;; [unrolled: 1-line block ×4, first 2 shown]
	s_clause 0x3
	scratch_load_b128 v[191:194], off, off offset:960
	scratch_load_b128 v[195:198], off, off offset:976
	scratch_load_b32 v199, off, off offset:1528
	scratch_load_b32 v200, off, off offset:1532
	ds_store_b128 v8, v[109:112] offset:48
	v_add_nc_u32_e32 v109, v249, v190
	s_waitcnt vmcnt(4)
	v_wmma_f32_16x16x16_f16 v[0:7], v[121:128], v[209:216], v[0:7]
	v_mov_b32_e32 v215, v71
	scratch_load_b32 v216, off, off offset:1508 ; 4-byte Folded Reload
	s_clause 0x1
	scratch_store_b128 off, v[0:3], off offset:64
	scratch_store_b128 off, v[4:7], off offset:80
	s_clause 0x1
	scratch_load_b128 v[0:3], off, off offset:192
	scratch_load_b128 v[4:7], off, off offset:208
	v_add_nc_u32_e32 v105, v249, v215
	scratch_load_b32 v249, off, off offset:1524 ; 4-byte Folded Reload
	s_waitcnt vmcnt(1)
	v_wmma_f32_16x16x16_f16 v[0:7], v[121:128], v[89:96], v[0:7]
	v_perm_b32 v89, v254, v236, 0x5040100
	v_perm_b32 v91, v254, v236, 0x7060302
	;; [unrolled: 1-line block ×4, first 2 shown]
	s_clause 0x1
	scratch_store_b128 off, v[0:3], off offset:192
	scratch_store_b128 off, v[4:7], off offset:208
	s_clause 0x1
	scratch_load_b128 v[0:3], off, off offset:32
	scratch_load_b128 v[4:7], off, off offset:48
	ds_store_b128 v8, v[89:92] offset:32
	v_dual_mov_b32 v89, v137 :: v_dual_mov_b32 v90, v138
	v_dual_mov_b32 v91, v17 :: v_dual_mov_b32 v92, v18
	;; [unrolled: 1-line block ×6, first 2 shown]
	s_delay_alu instid0(VALU_DEP_3)
	v_wmma_f32_16x16x16_f16 v[41:48], v[97:104], v[89:96], v[41:48]
	v_dual_mov_b32 v148, v60 :: v_dual_mov_b32 v147, v59
	v_dual_mov_b32 v146, v58 :: v_dual_mov_b32 v145, v57
	s_clause 0x1
	scratch_store_b128 off, v[41:44], off offset:640
	scratch_store_b128 off, v[45:48], off offset:656
	s_clause 0x1
	scratch_load_b128 v[41:44], off, off
	scratch_load_b128 v[45:48], off, off offset:16
	s_waitcnt vmcnt(2)
	v_wmma_f32_16x16x16_f16 v[0:7], v[121:128], v[149:156], v[0:7]
	v_dual_mov_b32 v121, v29 :: v_dual_mov_b32 v122, v30
	v_dual_mov_b32 v123, v9 :: v_dual_mov_b32 v124, v10
	s_clause 0x1
	scratch_store_b128 off, v[0:3], off offset:32
	scratch_store_b128 off, v[4:7], off offset:48
	s_clause 0x1
	scratch_load_b128 v[0:3], off, off offset:864
	scratch_load_b128 v[4:7], off, off offset:880
	v_dual_mov_b32 v125, v141 :: v_dual_mov_b32 v126, v142
	v_dual_mov_b32 v127, v13 :: v_dual_mov_b32 v128, v14
	;; [unrolled: 1-line block ×4, first 2 shown]
	s_waitcnt vmcnt(0)
	v_wmma_f32_16x16x16_f16 v[0:7], v[113:120], v[89:96], v[0:7]
	s_clause 0x1
	scratch_store_b128 off, v[0:3], off offset:864
	scratch_store_b128 off, v[4:7], off offset:880
	s_clause 0x1
	scratch_load_b128 v[0:3], off, off offset:352
	scratch_load_b128 v[4:7], off, off offset:368
	buffer_load_b128 v[173:176], v105, s[12:15], 0 offen
	s_waitcnt vmcnt(1)
	v_wmma_f32_16x16x16_f16 v[0:7], v[113:120], v[121:128], v[0:7]
	s_clause 0x1
	scratch_store_b128 off, v[0:3], off offset:352
	scratch_store_b128 off, v[4:7], off offset:368
	s_clause 0x1
	scratch_load_b128 v[0:3], off, off offset:320
	scratch_load_b128 v[4:7], off, off offset:336
	s_waitcnt vmcnt(0)
	v_wmma_f32_16x16x16_f16 v[0:7], v[113:120], v[9:16], v[0:7]
	s_clause 0x1
	scratch_store_b128 off, v[0:3], off offset:320
	scratch_store_b128 off, v[4:7], off offset:336
	s_clause 0x1
	scratch_load_b128 v[0:3], off, off offset:96
	scratch_load_b128 v[4:7], off, off offset:112
	s_waitcnt vmcnt(0)
	v_wmma_f32_16x16x16_f16 v[0:7], v[97:104], v[17:24], v[0:7]
	v_wmma_f32_16x16x16_f16 v[62:69], v[113:120], v[17:24], v[62:69]
	s_clause 0x3
	scratch_store_b128 off, v[0:3], off offset:96
	scratch_store_b128 off, v[62:65], off offset:832
	;; [unrolled: 1-line block ×4, first 2 shown]
	buffer_load_b128 v[25:28], v109, s[12:15], 0 offen
	s_clause 0x1
	scratch_load_b128 v[0:3], off, off offset:128
	scratch_load_b128 v[4:7], off, off offset:144
	s_waitcnt vmcnt(2)
	scratch_store_b128 off, v[25:28], off offset:1488 ; 16-byte Folded Spill
	v_dual_mov_b32 v25, v239 :: v_dual_mov_b32 v26, v240
	v_dual_mov_b32 v27, v241 :: v_dual_mov_b32 v28, v242
	;; [unrolled: 1-line block ×4, first 2 shown]
	s_delay_alu instid0(VALU_DEP_1)
	v_wmma_f32_16x16x16_f16 v[25:32], v[49:56], v[89:96], v[25:32]
	s_clause 0x1
	scratch_store_b128 off, v[25:28], off offset:384
	scratch_store_b128 off, v[29:32], off offset:400
	v_dual_mov_b32 v25, v157 :: v_dual_mov_b32 v26, v158
	v_dual_mov_b32 v27, v159 :: v_dual_mov_b32 v28, v160
	;; [unrolled: 1-line block ×4, first 2 shown]
	s_delay_alu instid0(VALU_DEP_1)
	v_wmma_f32_16x16x16_f16 v[25:32], v[49:56], v[9:16], v[25:32]
	s_clause 0x1
	scratch_store_b128 off, v[25:28], off offset:576
	scratch_store_b128 off, v[29:32], off offset:592
	s_clause 0x1
	scratch_load_b128 v[25:28], off, off offset:224
	scratch_load_b128 v[29:32], off, off offset:240
	s_waitcnt vmcnt(0)
	v_wmma_f32_16x16x16_f16 v[25:32], v[225:232], v[121:128], v[25:32]
	v_wmma_f32_16x16x16_f16 v[0:7], v[97:104], v[9:16], v[0:7]
	s_clause 0x2
	scratch_store_b128 off, v[25:28], off offset:224
	scratch_store_b128 off, v[0:3], off offset:128
	;; [unrolled: 1-line block ×3, first 2 shown]
	s_clause 0x1
	scratch_load_b128 v[0:3], off, off offset:608
	scratch_load_b128 v[4:7], off, off offset:624
	scratch_store_b128 off, v[29:32], off offset:240 ; 16-byte Folded Spill
	s_waitcnt vmcnt(0)
	v_wmma_f32_16x16x16_f16 v[0:7], v[73:80], v[17:24], v[0:7]
	s_clause 0x1
	scratch_store_b128 off, v[0:3], off offset:608
	scratch_store_b128 off, v[4:7], off offset:624
	s_clause 0x1
	scratch_load_b128 v[0:3], off, off offset:544
	scratch_load_b128 v[4:7], off, off offset:560
	s_waitcnt vmcnt(0)
	v_wmma_f32_16x16x16_f16 v[0:7], v[73:80], v[121:128], v[0:7]
	s_clause 0x1
	scratch_store_b128 off, v[0:3], off offset:544
	scratch_store_b128 off, v[4:7], off offset:560
	s_clause 0x1
	scratch_load_b128 v[0:3], off, off offset:512
	scratch_load_b128 v[4:7], off, off offset:528
	;; [unrolled: 8-line block ×6, first 2 shown]
	s_waitcnt vmcnt(0)
	v_wmma_f32_16x16x16_f16 v[0:7], v[225:232], v[17:24], v[0:7]
	v_wmma_f32_16x16x16_f16 v[33:40], v[97:104], v[121:128], v[33:40]
	ds_load_2addr_stride64_b64 v[97:100], v189 offset0:20 offset1:21
	ds_load_2addr_stride64_b64 v[101:104], v189 offset0:28 offset1:29
	s_clause 0x3
	scratch_store_b128 off, v[0:3], off offset:448
	scratch_store_b128 off, v[33:36], off offset:672
	scratch_store_b128 off, v[37:40], off offset:688
	scratch_store_b128 off, v[4:7], off offset:464
	s_clause 0x3
	scratch_load_b128 v[29:32], off, off offset:288
	scratch_load_b128 v[0:3], off, off offset:1088
	;; [unrolled: 1-line block ×4, first 2 shown]
	s_waitcnt vmcnt(0)
	v_wmma_f32_16x16x16_f16 v[29:36], v[0:7], v[89:96], v[29:36]
	s_clause 0x1
	scratch_store_b128 off, v[29:32], off offset:288
	scratch_store_b128 off, v[33:36], off offset:304
	s_clause 0x1
	scratch_load_b128 v[29:32], off, off offset:704
	scratch_load_b128 v[33:36], off, off offset:720
	s_waitcnt vmcnt(0)
	v_wmma_f32_16x16x16_f16 v[29:36], v[0:7], v[17:24], v[29:36]
	s_clause 0x1
	scratch_store_b128 off, v[29:32], off offset:704
	scratch_store_b128 off, v[33:36], off offset:720
	s_clause 0x1
	scratch_load_b128 v[29:32], off, off offset:768
	scratch_load_b128 v[33:36], off, off offset:784
	s_waitcnt vmcnt(0)
	v_wmma_f32_16x16x16_f16 v[29:36], v[0:7], v[9:16], v[29:36]
	s_clause 0x1
	scratch_store_b128 off, v[29:32], off offset:768
	scratch_store_b128 off, v[33:36], off offset:784
	ds_load_b128 v[29:32], v248 offset:4608
	v_wmma_f32_16x16x16_f16 v[191:198], v[201:208], v[149:156], v[191:198]
	scratch_load_b32 v201, off, off offset:1520 ; 4-byte Folded Reload
	ds_load_2addr_stride64_b64 v[149:152], v189 offset0:16 offset1:17
	ds_load_2addr_stride64_b64 v[153:156], v189 offset0:26 offset1:27
	; sched_group_barrier mask(0x00000100) size(1) SyncID(0)
	v_wmma_f32_16x16x16_f16 v[191:198], v[0:7], v[121:128], v[191:198]
	s_clause 0x1
	scratch_load_b128 v[0:3], off, off offset:1056
	scratch_load_b128 v[4:7], off, off offset:1072
	s_waitcnt vmcnt(0)
	v_wmma_f32_16x16x16_f16 v[41:48], v[0:7], v[121:128], v[41:48]
	ds_load_b128 v[25:28], v248 offset:512
	ds_store_b128 v8, v[165:168] offset:16
	s_clause 0x1
	scratch_load_b128 v[165:168], off, off offset:800
	scratch_load_b128 v[169:172], off, off offset:816
	s_clause 0x1
	scratch_store_b128 off, v[41:44], off
	scratch_store_b128 off, v[45:48], off offset:16
	; sched_group_barrier mask(0x00000008) size(1) SyncID(0)
	; sched_group_barrier mask(0x00000200) size(1) SyncID(0)
	s_waitcnt lgkmcnt(1)
	s_clause 0x1
	scratch_store_b128 off, v[25:28], off offset:800
	scratch_store_b128 off, v[29:32], off offset:816
	s_clause 0x1
	scratch_load_b128 v[25:28], off, off offset:736
	scratch_load_b128 v[29:32], off, off offset:752
	s_waitcnt vmcnt(0)
	v_wmma_f32_16x16x16_f16 v[25:32], v[0:7], v[89:96], v[25:32]
	s_clause 0x1
	scratch_store_b128 off, v[25:28], off offset:736
	scratch_store_b128 off, v[29:32], off offset:752
	s_clause 0x1
	scratch_load_b128 v[25:28], off, off offset:256
	scratch_load_b128 v[29:32], off, off offset:272
	s_waitcnt vmcnt(0)
	v_wmma_f32_16x16x16_f16 v[25:32], v[0:7], v[17:24], v[25:32]
	;; [unrolled: 8-line block ×3, first 2 shown]
	s_clause 0x1
	scratch_load_b128 v[0:3], off, off offset:64
	scratch_load_b128 v[4:7], off, off offset:80
	v_wmma_f32_16x16x16_f16 v[177:184], v[225:232], v[9:16], v[177:184]
	ds_load_2addr_stride64_b64 v[109:112], v189 offset0:14 offset1:15
	s_clause 0x1
	scratch_store_b128 off, v[25:28], off offset:160
	scratch_store_b128 off, v[29:32], off offset:176
	s_clause 0x1
	scratch_load_b128 v[25:28], off, off offset:1024
	scratch_load_b128 v[29:32], off, off offset:1040
	ds_load_2addr_stride64_b64 v[65:68], v189 offset0:10 offset1:11
	v_wmma_f32_16x16x16_f16 v[165:172], v[73:80], v[89:96], v[165:172]
	ds_load_2addr_stride64_b64 v[105:108], v189 offset0:6 offset1:7
	ds_load_2addr_stride64_b64 v[209:212], v238 offset0:34 offset1:35
	;; [unrolled: 1-line block ×5, first 2 shown]
	v_mov_b32_e32 v188, v184
	v_dual_mov_b32 v187, v183 :: v_dual_mov_b32 v186, v182
	v_dual_mov_b32 v185, v181 :: v_dual_mov_b32 v184, v180
	v_mov_b32_e32 v183, v179
	v_mov_b32_e32 v182, v178
	;; [unrolled: 1-line block ×3, first 2 shown]
	; sched_group_barrier mask(0x00000008) size(1) SyncID(0)
	; sched_group_barrier mask(0x00000020) size(1) SyncID(0)
	;; [unrolled: 1-line block ×80, first 2 shown]
	s_waitcnt vmcnt(0)
	v_wmma_f32_16x16x16_f16 v[0:7], v[25:32], v[89:96], v[0:7]
	v_wmma_f32_16x16x16_f16 v[129:136], v[25:32], v[9:16], v[129:136]
	ds_load_2addr_stride64_b64 v[89:92], v189 offset0:22 offset1:23
	ds_load_2addr_stride64_b64 v[93:96], v189 offset0:30 offset1:31
	s_clause 0x1
	scratch_store_b128 off, v[0:3], off offset:64
	scratch_store_b128 off, v[4:7], off offset:80
	s_clause 0x1
	scratch_load_b128 v[0:3], off, off offset:192
	scratch_load_b128 v[4:7], off, off offset:208
	s_clause 0x1
	scratch_store_b128 off, v[129:132], off offset:928
	scratch_store_b128 off, v[133:136], off offset:944
	ds_load_b128 v[129:132], v248 offset:11776
	ds_load_b128 v[133:136], v248 offset:15872
	s_waitcnt vmcnt(0)
	v_wmma_f32_16x16x16_f16 v[0:7], v[25:32], v[17:24], v[0:7]
	s_clause 0x1
	scratch_store_b128 off, v[0:3], off offset:192
	scratch_store_b128 off, v[4:7], off offset:208
	s_clause 0x1
	scratch_load_b128 v[0:3], off, off offset:32
	scratch_load_b128 v[4:7], off, off offset:48
	s_waitcnt vmcnt(0)
	v_wmma_f32_16x16x16_f16 v[0:7], v[25:32], v[121:128], v[0:7]
	ds_load_2addr_stride64_b64 v[121:124], v189 offset0:24 offset1:25
	ds_load_2addr_stride64_b64 v[125:128], v189 offset0:18 offset1:19
	s_clause 0x1
	scratch_store_b128 off, v[0:3], off offset:32
	scratch_store_b128 off, v[4:7], off offset:48
	ds_load_b128 v[0:3], v248 offset:1024
	ds_load_b128 v[4:7], v248 offset:5120
	s_waitcnt lgkmcnt(0)
	s_clause 0x1
	scratch_store_b128 off, v[0:3], off offset:1376
	scratch_store_b128 off, v[4:7], off offset:1392
	ds_load_b128 v[0:3], v248 offset:1536
	ds_load_b128 v[4:7], v248 offset:5632
	s_waitcnt lgkmcnt(0)
	;; [unrolled: 6-line block ×13, first 2 shown]
	s_clause 0x1
	scratch_store_b128 off, v[0:3], off offset:1024
	scratch_store_b128 off, v[4:7], off offset:1040
	s_clause 0x2
	scratch_load_b128 v[0:3], off, off offset:1540
	; sched_barrier mask(0x00000000)
	scratch_load_b32 v218, off, off offset:1536
	scratch_load_b32 v219, off, off offset:1516
	s_waitcnt vmcnt(2)
	v_dual_mov_b32 v225, v0 :: v_dual_add_nc_u32 v220, s16, v190
	v_dual_mov_b32 v232, v86 :: v_dual_add_nc_u32 v215, s16, v215
	;; [unrolled: 1-line block ×10, first 2 shown]
	v_dual_mov_b32 v137, v125 :: v_dual_mov_b32 v144, v94
	v_dual_mov_b32 v73, v127 :: v_dual_mov_b32 v80, v96
	;; [unrolled: 1-line block ×26, first 2 shown]
	s_add_i32 s23, s23, 2
	scratch_store_b32 off, v70, off offset:1504 ; 4-byte Folded Spill
	s_cmp_lt_i32 s23, s6
	v_dual_mov_b32 v40, v110 :: v_dual_mov_b32 v113, v149
	s_waitcnt vmcnt(1)
	v_add_nc_u32_e32 v218, s16, v218
	s_waitcnt vmcnt(0)
	v_add_nc_u32_e32 v219, s16, v219
	s_cbranch_scc1 .LBB4_10
; %bb.11:
	v_dual_mov_b32 v37, v65 :: v_dual_mov_b32 v38, v66
	v_dual_mov_b32 v39, v109 :: v_dual_mov_b32 v40, v110
	;; [unrolled: 1-line block ×3, first 2 shown]
	s_waitcnt lgkmcnt(0)
	s_waitcnt_vscnt null, 0x0
	s_barrier
	s_clause 0xa
	scratch_load_b128 v[49:52], off, off offset:864
	scratch_load_b128 v[8:11], off, off offset:1152
	;; [unrolled: 1-line block ×5, first 2 shown]
	scratch_load_b32 v243, off, off offset:1708
	scratch_load_b128 v[53:56], off, off offset:880
	scratch_load_b128 v[12:15], off, off offset:1168
	;; [unrolled: 1-line block ×5, first 2 shown]
	v_dual_mov_b32 v25, v0 :: v_dual_mov_b32 v26, v1
	v_dual_mov_b32 v27, v81 :: v_dual_mov_b32 v28, v82
	;; [unrolled: 1-line block ×9, first 2 shown]
	s_clause 0x5
	scratch_load_b128 v[0:3], off, off offset:640
	scratch_load_b128 v[4:7], off, off offset:656
	;; [unrolled: 1-line block ×6, first 2 shown]
	v_dual_mov_b32 v230, v188 :: v_dual_mov_b32 v229, v187
	v_dual_mov_b32 v228, v186 :: v_dual_mov_b32 v227, v185
	;; [unrolled: 1-line block ×4, first 2 shown]
	s_clause 0xf
	scratch_load_b128 v[181:184], off, off offset:288
	scratch_load_b128 v[173:176], off, off offset:704
	;; [unrolled: 1-line block ×7, first 2 shown]
	scratch_load_b128 v[113:116], off, off
	scratch_load_b128 v[161:164], off, off offset:752
	scratch_load_b128 v[117:120], off, off offset:16
	;; [unrolled: 1-line block ×8, first 2 shown]
	s_mul_i32 s4, s4, s21
	s_mul_hi_u32 s6, s22, s21
	s_delay_alu instid0(SALU_CYCLE_1)
	s_add_i32 s4, s6, s4
	s_waitcnt vmcnt(27)
	ds_load_b128 v[16:19], v243
	; sched_group_barrier mask(0x00000100) size(1) SyncID(0)
	s_waitcnt vmcnt(25)
	v_wmma_f32_16x16x16_f16 v[49:56], v[8:15], v[25:32], v[49:56]
	s_waitcnt vmcnt(24)
	v_wmma_f32_16x16x16_f16 v[57:64], v[8:15], v[81:88], v[57:64]
	s_waitcnt vmcnt(23)
	v_wmma_f32_16x16x16_f16 v[65:72], v[8:15], v[33:40], v[65:72]
	s_waitcnt vmcnt(22)
	v_wmma_f32_16x16x16_f16 v[244:251], v[8:15], v[105:112], v[244:251]
	s_clause 0x1
	scratch_load_b128 v[8:11], off, off offset:800
	scratch_load_b128 v[12:15], off, off offset:816
	s_waitcnt vmcnt(0)
	v_wmma_f32_16x16x16_f16 v[0:7], v[8:15], v[25:32], v[0:7]
	ds_load_b128 v[20:23], v243 offset:4096
	s_waitcnt lgkmcnt(0)
	s_clause 0x1
	scratch_store_b128 off, v[16:19], off offset:320
	scratch_store_b128 off, v[20:23], off offset:336
	scratch_load_b32 v17, off, off offset:1712 ; 4-byte Folded Reload
	s_clause 0x1
	scratch_store_b128 off, v[0:3], off offset:640
	scratch_store_b128 off, v[4:7], off offset:656
	s_clause 0x1
	scratch_load_b128 v[0:3], off, off offset:96
	scratch_load_b128 v[4:7], off, off offset:112
	; sched_group_barrier mask(0x00000008) size(5) SyncID(0)
	; sched_group_barrier mask(0x00000100) size(1) SyncID(0)
	s_waitcnt vmcnt(0)
	v_wmma_f32_16x16x16_f16 v[0:7], v[8:15], v[81:88], v[0:7]
	s_clause 0x1
	scratch_store_b128 off, v[0:3], off offset:96
	scratch_store_b128 off, v[4:7], off offset:112
	s_clause 0x1
	scratch_load_b128 v[0:3], off, off offset:672
	scratch_load_b128 v[4:7], off, off offset:688
	s_waitcnt vmcnt(0)
	v_wmma_f32_16x16x16_f16 v[0:7], v[8:15], v[33:40], v[0:7]
	s_clause 0x1
	scratch_store_b128 off, v[0:3], off offset:672
	scratch_store_b128 off, v[4:7], off offset:688
	s_clause 0x1
	scratch_load_b128 v[0:3], off, off offset:128
	scratch_load_b128 v[4:7], off, off offset:144
	s_waitcnt vmcnt(0)
	v_wmma_f32_16x16x16_f16 v[0:7], v[8:15], v[105:112], v[0:7]
	s_clause 0x1
	scratch_load_b128 v[8:11], off, off offset:1376
	scratch_load_b128 v[12:15], off, off offset:1392
	s_clause 0x1
	scratch_store_b128 off, v[0:3], off offset:128
	scratch_store_b128 off, v[4:7], off offset:144
	s_clause 0x1
	scratch_load_b128 v[0:3], off, off offset:608
	scratch_load_b128 v[4:7], off, off offset:624
	s_waitcnt vmcnt(2)
	v_wmma_f32_16x16x16_f16 v[165:172], v[8:15], v[25:32], v[165:172]
	s_waitcnt vmcnt(0)
	v_wmma_f32_16x16x16_f16 v[0:7], v[8:15], v[81:88], v[0:7]
	ds_load_2addr_stride64_b64 v[239:242], v17 offset0:32 offset1:33
	; sched_group_barrier mask(0x00000008) size(5) SyncID(0)
	; sched_group_barrier mask(0x00000100) size(1) SyncID(0)
	s_clause 0x1
	scratch_store_b128 off, v[0:3], off offset:608
	scratch_store_b128 off, v[4:7], off offset:624
	s_clause 0x1
	scratch_load_b128 v[0:3], off, off offset:544
	scratch_load_b128 v[4:7], off, off offset:560
	s_waitcnt vmcnt(0)
	v_wmma_f32_16x16x16_f16 v[0:7], v[8:15], v[33:40], v[0:7]
	s_clause 0x1
	scratch_store_b128 off, v[0:3], off offset:544
	scratch_store_b128 off, v[4:7], off offset:560
	s_clause 0x1
	scratch_load_b128 v[0:3], off, off offset:512
	scratch_load_b128 v[4:7], off, off offset:528
	s_waitcnt vmcnt(0)
	v_wmma_f32_16x16x16_f16 v[0:7], v[8:15], v[105:112], v[0:7]
	scratch_load_b32 v8, off, off offset:1704 ; 4-byte Folded Reload
	s_clause 0x1
	scratch_store_b128 off, v[0:3], off offset:512
	scratch_store_b128 off, v[4:7], off offset:528
	s_clause 0x1
	scratch_load_b128 v[0:3], off, off offset:384
	scratch_load_b128 v[4:7], off, off offset:400
	s_waitcnt vmcnt(2)
	ds_load_2addr_stride64_b64 v[252:255], v8 offset0:18 offset1:19
	s_waitcnt vmcnt(0)
	v_wmma_f32_16x16x16_f16 v[0:7], v[41:48], v[25:32], v[0:7]
	s_clause 0x1
	scratch_store_b128 off, v[0:3], off offset:384
	scratch_store_b128 off, v[4:7], off offset:400
	s_clause 0x1
	scratch_load_b128 v[0:3], off, off offset:480
	scratch_load_b128 v[4:7], off, off offset:496
	s_waitcnt vmcnt(0)
	v_wmma_f32_16x16x16_f16 v[0:7], v[41:48], v[81:88], v[0:7]
	s_clause 0x1
	scratch_store_b128 off, v[0:3], off offset:480
	scratch_store_b128 off, v[4:7], off offset:496
	s_clause 0x1
	scratch_load_b128 v[0:3], off, off offset:896
	scratch_load_b128 v[4:7], off, off offset:912
	s_waitcnt vmcnt(0)
	v_wmma_f32_16x16x16_f16 v[0:7], v[41:48], v[33:40], v[0:7]
	ds_load_2addr_stride64_b64 v[9:12], v8 offset0:4 offset1:5
	v_wmma_f32_16x16x16_f16 v[73:80], v[41:48], v[105:112], v[73:80]
	s_clause 0x1
	scratch_load_b128 v[41:44], off, off offset:416
	scratch_load_b128 v[45:48], off, off offset:432
	; sched_group_barrier mask(0x00000008) size(5) SyncID(0)
	; sched_group_barrier mask(0x00000100) size(1) SyncID(0)
	s_clause 0x1
	scratch_store_b128 off, v[73:76], off offset:576
	scratch_store_b128 off, v[77:80], off offset:592
	s_clause 0x1
	scratch_load_b128 v[73:76], off, off offset:960
	scratch_load_b128 v[77:80], off, off offset:976
	s_waitcnt vmcnt(0)
	v_nop
	v_wmma_f32_16x16x16_f16 v[41:48], v[73:80], v[25:32], v[41:48]
	v_wmma_f32_16x16x16_f16 v[223:230], v[73:80], v[105:112], v[223:230]
	s_clause 0x1
	scratch_store_b128 off, v[41:44], off offset:416
	scratch_store_b128 off, v[45:48], off offset:432
	s_clause 0x1
	scratch_load_b128 v[41:44], off, off offset:448
	scratch_load_b128 v[45:48], off, off offset:464
	s_waitcnt vmcnt(0)
	v_wmma_f32_16x16x16_f16 v[41:48], v[73:80], v[81:88], v[41:48]
	s_clause 0x1
	scratch_store_b128 off, v[41:44], off offset:448
	scratch_store_b128 off, v[45:48], off offset:464
	s_clause 0x1
	scratch_load_b128 v[41:44], off, off offset:224
	scratch_load_b128 v[45:48], off, off offset:240
	s_waitcnt vmcnt(0)
	v_wmma_f32_16x16x16_f16 v[41:48], v[73:80], v[33:40], v[41:48]
	s_clause 0x1
	scratch_load_b128 v[73:76], off, off offset:1312
	scratch_load_b128 v[77:80], off, off offset:1328
	ds_load_2addr_stride64_b64 v[145:148], v8 offset0:8 offset1:9
	; sched_group_barrier mask(0x00000008) size(5) SyncID(0)
	; sched_group_barrier mask(0x00000100) size(1) SyncID(0)
	s_waitcnt vmcnt(0)
	v_wmma_f32_16x16x16_f16 v[181:188], v[73:80], v[25:32], v[181:188]
	v_wmma_f32_16x16x16_f16 v[173:180], v[73:80], v[81:88], v[173:180]
	;; [unrolled: 1-line block ×4, first 2 shown]
	s_clause 0x1
	scratch_load_b128 v[73:76], off, off offset:1280
	scratch_load_b128 v[77:80], off, off offset:1296
	s_clause 0x1
	scratch_store_b128 off, v[191:194], off offset:960
	scratch_store_b128 off, v[195:198], off offset:976
	s_waitcnt vmcnt(0)
	v_wmma_f32_16x16x16_f16 v[157:164], v[73:80], v[25:32], v[157:164]
	ds_load_2addr_stride64_b64 v[13:16], v8 offset0:12 offset1:13
	v_wmma_f32_16x16x16_f16 v[113:120], v[73:80], v[33:40], v[113:120]
	v_wmma_f32_16x16x16_f16 v[137:144], v[73:80], v[81:88], v[137:144]
	; sched_group_barrier mask(0x00000008) size(5) SyncID(0)
	; sched_group_barrier mask(0x00000100) size(1) SyncID(0)
	s_clause 0x1
	scratch_store_b128 off, v[113:116], off
	scratch_store_b128 off, v[117:120], off offset:16
	s_clause 0x1
	scratch_load_b128 v[113:116], off, off offset:160
	scratch_load_b128 v[117:120], off, off offset:176
	s_waitcnt vmcnt(0)
	v_wmma_f32_16x16x16_f16 v[113:120], v[73:80], v[105:112], v[113:120]
	s_clause 0x1
	scratch_load_b128 v[73:76], off, off offset:1248
	scratch_load_b128 v[77:80], off, off offset:1264
	s_waitcnt vmcnt(0)
	v_wmma_f32_16x16x16_f16 v[207:214], v[73:80], v[25:32], v[207:214]
	v_wmma_f32_16x16x16_f16 v[231:238], v[73:80], v[81:88], v[231:238]
	ds_load_2addr_stride64_b64 v[191:194], v17 offset0:34 offset1:35
	s_clause 0x1
	scratch_load_b128 v[17:20], off, off offset:32
	scratch_load_b128 v[21:24], off, off offset:48
	s_clause 0x1
	scratch_store_b128 off, v[207:210], off offset:64
	scratch_store_b128 off, v[211:214], off offset:80
	s_clause 0x1
	scratch_load_b128 v[207:210], off, off offset:928
	scratch_load_b128 v[211:214], off, off offset:944
	v_dual_mov_b32 v25, v149 :: v_dual_mov_b32 v26, v150
	v_dual_mov_b32 v27, v97 :: v_dual_mov_b32 v28, v98
	v_dual_mov_b32 v97, v151 :: v_dual_mov_b32 v98, v152
	v_dual_mov_b32 v29, v121 :: v_dual_mov_b32 v30, v122
	v_dual_mov_b32 v31, v101 :: v_dual_mov_b32 v32, v102
	v_dual_mov_b32 v101, v123 :: v_dual_mov_b32 v102, v124
	v_dual_mov_b32 v215, v231 :: v_dual_mov_b32 v216, v232
	v_dual_mov_b32 v217, v233 :: v_dual_mov_b32 v218, v234
	v_dual_mov_b32 v219, v235 :: v_dual_mov_b32 v220, v236
	v_dual_mov_b32 v221, v237 :: v_dual_mov_b32 v222, v238
	s_clause 0x1
	scratch_load_b128 v[231:234], off, off offset:448
	scratch_load_b128 v[235:238], off, off offset:464
	ds_load_b128 v[121:124], v243 offset:2560
	ds_load_b128 v[149:152], v243 offset:8192
	v_wmma_f32_16x16x16_f16 v[215:222], v[129:136], v[97:104], v[215:222]
	; sched_group_barrier mask(0x00000008) size(5) SyncID(0)
	; sched_group_barrier mask(0x00000100) size(1) SyncID(0)
	s_clause 0x1
	scratch_store_b128 off, v[215:218], off offset:192
	scratch_store_b128 off, v[219:222], off offset:208
	ds_load_b128 v[215:218], v243 offset:10240
	ds_load_b128 v[219:222], v243 offset:14336
	s_waitcnt vmcnt(4)
	v_wmma_f32_16x16x16_f16 v[17:24], v[73:80], v[33:40], v[17:24]
	v_dual_mov_b32 v33, v125 :: v_dual_mov_b32 v34, v126
	v_dual_mov_b32 v35, v89 :: v_dual_mov_b32 v36, v90
	s_clause 0x1
	scratch_store_b128 off, v[17:20], off offset:32
	scratch_store_b128 off, v[21:24], off offset:48
	s_clause 0x1
	scratch_load_b128 v[17:20], off, off offset:1216
	scratch_load_b128 v[21:24], off, off offset:1232
	v_dual_mov_b32 v89, v127 :: v_dual_mov_b32 v90, v128
	v_dual_mov_b32 v37, v153 :: v_dual_mov_b32 v38, v154
	;; [unrolled: 1-line block ×4, first 2 shown]
	s_waitcnt vmcnt(4)
	v_wmma_f32_16x16x16_f16 v[207:214], v[73:80], v[105:112], v[207:214]
	s_clause 0x1
	scratch_load_b128 v[77:80], off, off offset:640
	scratch_load_b128 v[81:84], off, off offset:656
	ds_load_b128 v[125:128], v243 offset:6656
	ds_load_b128 v[153:156], v243 offset:12288
	v_wmma_f32_16x16x16_f16 v[207:214], v[129:136], v[89:96], v[207:214]
	s_clause 0x1
	scratch_store_b128 off, v[207:210], off offset:928
	scratch_store_b128 off, v[211:214], off offset:944
	s_waitcnt vmcnt(2)
	v_wmma_f32_16x16x16_f16 v[49:56], v[17:24], v[25:32], v[49:56]
	v_wmma_f32_16x16x16_f16 v[57:64], v[17:24], v[97:104], v[57:64]
	;; [unrolled: 1-line block ×3, first 2 shown]
	ds_load_2addr_stride64_b64 v[73:76], v8 offset0:6 offset1:7
	v_wmma_f32_16x16x16_f16 v[244:251], v[17:24], v[89:96], v[244:251]
	s_clause 0x1
	scratch_load_b128 v[17:20], off, off offset:1184
	scratch_load_b128 v[21:24], off, off offset:1200
	; sched_group_barrier mask(0x00000008) size(5) SyncID(0)
	; sched_group_barrier mask(0x00000100) size(1) SyncID(0)
	s_waitcnt vmcnt(0)
	v_wmma_f32_16x16x16_f16 v[77:84], v[17:24], v[25:32], v[77:84]
	s_clause 0x1
	scratch_store_b128 off, v[77:80], off offset:640
	scratch_store_b128 off, v[81:84], off offset:656
	s_clause 0x1
	scratch_load_b128 v[77:80], off, off offset:96
	scratch_load_b128 v[81:84], off, off offset:112
	s_waitcnt vmcnt(0)
	v_wmma_f32_16x16x16_f16 v[77:84], v[17:24], v[97:104], v[77:84]
	s_clause 0x1
	scratch_store_b128 off, v[77:80], off offset:96
	scratch_store_b128 off, v[81:84], off offset:112
	s_clause 0x1
	scratch_load_b128 v[77:80], off, off offset:672
	scratch_load_b128 v[81:84], off, off offset:688
	s_waitcnt vmcnt(0)
	v_wmma_f32_16x16x16_f16 v[77:84], v[17:24], v[33:40], v[77:84]
	s_clause 0x1
	scratch_store_b128 off, v[77:80], off offset:672
	scratch_store_b128 off, v[81:84], off offset:688
	s_clause 0x1
	scratch_load_b128 v[77:80], off, off offset:128
	scratch_load_b128 v[81:84], off, off offset:144
	s_waitcnt vmcnt(0)
	v_wmma_f32_16x16x16_f16 v[77:84], v[17:24], v[89:96], v[77:84]
	s_clause 0x1
	scratch_load_b128 v[17:20], off, off offset:1120
	scratch_load_b128 v[21:24], off, off offset:1136
	ds_load_2addr_stride64_b64 v[195:198], v8 offset0:10 offset1:11
	; sched_group_barrier mask(0x00000008) size(5) SyncID(0)
	; sched_group_barrier mask(0x00000100) size(1) SyncID(0)
	s_clause 0x1
	scratch_store_b128 off, v[77:80], off offset:128
	scratch_store_b128 off, v[81:84], off offset:144
	s_clause 0x1
	scratch_load_b128 v[77:80], off, off offset:608
	scratch_load_b128 v[81:84], off, off offset:624
	s_waitcnt vmcnt(2)
	v_wmma_f32_16x16x16_f16 v[165:172], v[17:24], v[25:32], v[165:172]
	s_waitcnt vmcnt(0)
	v_wmma_f32_16x16x16_f16 v[77:84], v[17:24], v[97:104], v[77:84]
	s_clause 0x1
	scratch_store_b128 off, v[77:80], off offset:608
	scratch_store_b128 off, v[81:84], off offset:624
	s_clause 0x1
	scratch_load_b128 v[77:80], off, off offset:544
	scratch_load_b128 v[81:84], off, off offset:560
	s_waitcnt vmcnt(0)
	v_wmma_f32_16x16x16_f16 v[77:84], v[17:24], v[33:40], v[77:84]
	s_clause 0x1
	scratch_store_b128 off, v[77:80], off offset:544
	scratch_store_b128 off, v[81:84], off offset:560
	s_clause 0x1
	scratch_load_b128 v[77:80], off, off offset:512
	scratch_load_b128 v[81:84], off, off offset:528
	s_waitcnt vmcnt(0)
	v_wmma_f32_16x16x16_f16 v[77:84], v[17:24], v[89:96], v[77:84]
	s_clause 0x1
	scratch_load_b128 v[17:20], off, off offset:992
	scratch_load_b128 v[21:24], off, off offset:1008
	s_clause 0x1
	scratch_store_b128 off, v[77:80], off offset:512
	scratch_store_b128 off, v[81:84], off offset:528
	s_clause 0x1
	scratch_load_b128 v[77:80], off, off offset:384
	scratch_load_b128 v[81:84], off, off offset:400
	s_waitcnt vmcnt(0)
	v_wmma_f32_16x16x16_f16 v[77:84], v[17:24], v[25:32], v[77:84]
	; sched_group_barrier mask(0x00000008) size(5) SyncID(0)
	s_clause 0x1
	scratch_store_b128 off, v[77:80], off offset:384
	scratch_store_b128 off, v[81:84], off offset:400
	ds_load_2addr_stride64_b64 v[77:80], v8 offset0:14 offset1:15
	v_wmma_f32_16x16x16_f16 v[0:7], v[17:24], v[33:40], v[0:7]
	s_clause 0x1
	scratch_load_b128 v[81:84], off, off offset:480
	scratch_load_b128 v[85:88], off, off offset:496
	; sched_group_barrier mask(0x00000100) size(1) SyncID(0)
	s_clause 0x1
	scratch_store_b128 off, v[0:3], off offset:896
	scratch_store_b128 off, v[4:7], off offset:912
	s_clause 0x1
	scratch_load_b128 v[0:3], off, off offset:576
	scratch_load_b128 v[4:7], off, off offset:592
	s_waitcnt vmcnt(2)
	v_wmma_f32_16x16x16_f16 v[81:88], v[17:24], v[97:104], v[81:88]
	scratch_store_b128 off, v[81:84], off offset:480 ; 16-byte Folded Spill
	s_waitcnt vmcnt(0)
	v_wmma_f32_16x16x16_f16 v[0:7], v[17:24], v[89:96], v[0:7]
	s_clause 0x1
	scratch_load_b128 v[17:20], off, off offset:1088
	scratch_load_b128 v[21:24], off, off offset:1104
	scratch_store_b128 off, v[85:88], off offset:496 ; 16-byte Folded Spill
	ds_load_b128 v[81:84], v243 offset:3584
	s_clause 0x1
	scratch_store_b128 off, v[0:3], off offset:576
	scratch_store_b128 off, v[4:7], off offset:592
	s_clause 0x1
	scratch_load_b128 v[0:3], off, off offset:416
	scratch_load_b128 v[4:7], off, off offset:432
	ds_load_b128 v[85:88], v243 offset:7680
	s_waitcnt vmcnt(2)
	v_wmma_f32_16x16x16_f16 v[231:238], v[17:24], v[97:104], v[231:238]
	s_waitcnt vmcnt(0)
	v_wmma_f32_16x16x16_f16 v[0:7], v[17:24], v[25:32], v[0:7]
	ds_load_b128 v[105:108], v243 offset:512
	v_wmma_f32_16x16x16_f16 v[41:48], v[17:24], v[33:40], v[41:48]
	v_wmma_f32_16x16x16_f16 v[223:230], v[17:24], v[89:96], v[223:230]
	scratch_load_b128 v[17:20], off, off offset:1056 ; 16-byte Folded Reload
	s_clause 0x1
	scratch_store_b128 off, v[0:3], off offset:416
	scratch_store_b128 off, v[4:7], off offset:432
	s_clause 0x2
	scratch_load_b128 v[0:3], off, off offset:960
	scratch_load_b128 v[21:24], off, off offset:1072
	;; [unrolled: 1-line block ×3, first 2 shown]
	s_clause 0x1
	scratch_store_b128 off, v[223:226], off offset:992
	scratch_store_b128 off, v[227:230], off offset:1008
	ds_load_2addr_stride64_b64 v[223:226], v8 offset0:26 offset1:27
	; sched_group_barrier mask(0x00000008) size(5) SyncID(0)
	; sched_group_barrier mask(0x00000100) size(1) SyncID(0)
	s_waitcnt vmcnt(1)
	v_wmma_f32_16x16x16_f16 v[181:188], v[17:24], v[25:32], v[181:188]
	s_waitcnt vmcnt(0)
	v_wmma_f32_16x16x16_f16 v[0:7], v[17:24], v[33:40], v[0:7]
	v_wmma_f32_16x16x16_f16 v[173:180], v[17:24], v[97:104], v[173:180]
	ds_load_b128 v[109:112], v243 offset:4608
	v_wmma_f32_16x16x16_f16 v[199:206], v[17:24], v[89:96], v[199:206]
	scratch_load_b128 v[17:20], off, off offset:1024 ; 16-byte Folded Reload
	s_clause 0x1
	scratch_store_b128 off, v[0:3], off offset:960
	scratch_store_b128 off, v[4:7], off offset:976
	s_clause 0x2
	scratch_load_b128 v[0:3], off, off
	scratch_load_b128 v[21:24], off, off offset:1040
	scratch_load_b128 v[4:7], off, off offset:16
	s_clause 0x1
	scratch_store_b128 off, v[173:176], off offset:704
	scratch_store_b128 off, v[177:180], off offset:720
	ds_load_b128 v[173:176], v243 offset:9728
	ds_load_b128 v[177:180], v243 offset:13824
	v_dual_mov_b32 v214, v188 :: v_dual_mov_b32 v213, v187
	v_dual_mov_b32 v212, v186 :: v_dual_mov_b32 v211, v185
	;; [unrolled: 1-line block ×4, first 2 shown]
	; sched_group_barrier mask(0x00000008) size(5) SyncID(0)
	; sched_group_barrier mask(0x00000100) size(1) SyncID(0)
	s_waitcnt vmcnt(1)
	v_wmma_f32_16x16x16_f16 v[157:164], v[17:24], v[25:32], v[157:164]
	s_waitcnt vmcnt(0)
	v_wmma_f32_16x16x16_f16 v[0:7], v[17:24], v[33:40], v[0:7]
	v_wmma_f32_16x16x16_f16 v[137:144], v[17:24], v[97:104], v[137:144]
	;; [unrolled: 1-line block ×3, first 2 shown]
	ds_load_b128 v[89:92], v243 offset:1024
	s_clause 0x2
	scratch_store_b128 off, v[157:160], off offset:736
	scratch_store_b128 off, v[0:3], off
	scratch_store_b128 off, v[4:7], off offset:16
	s_clause 0x1
	scratch_load_b128 v[0:3], off, off offset:64
	scratch_load_b128 v[4:7], off, off offset:80
	s_clause 0x4
	scratch_store_b128 off, v[137:140], off offset:256
	scratch_store_b128 off, v[113:116], off offset:160
	;; [unrolled: 1-line block ×5, first 2 shown]
	ds_load_b128 v[93:96], v243 offset:5120
	ds_load_b128 v[97:100], v243 offset:1536
	;; [unrolled: 1-line block ×9, first 2 shown]
	ds_load_2addr_stride64_b64 v[137:140], v8 offset0:16 offset1:17
	ds_load_2addr_stride64_b64 v[141:144], v8 offset0:24 offset1:25
	; sched_group_barrier mask(0x00000008) size(5) SyncID(0)
	s_waitcnt vmcnt(0)
	v_wmma_f32_16x16x16_f16 v[0:7], v[129:136], v[25:32], v[0:7]
	ds_load_b128 v[25:28], v243 offset:10752
	ds_load_b128 v[29:32], v243 offset:14848
	s_clause 0x1
	scratch_store_b128 off, v[0:3], off offset:64
	scratch_store_b128 off, v[4:7], off offset:80
	s_clause 0x1
	scratch_load_b128 v[0:3], off, off offset:32
	scratch_load_b128 v[4:7], off, off offset:48
	s_waitcnt lgkmcnt(0)
	s_clause 0x1
	scratch_store_b128 off, v[25:28], off offset:864
	scratch_store_b128 off, v[29:32], off offset:880
	ds_load_b128 v[25:28], v243 offset:11264
	ds_load_b128 v[29:32], v243 offset:15360
	s_waitcnt lgkmcnt(0)
	s_clause 0x1
	scratch_store_b128 off, v[25:28], off offset:832
	scratch_store_b128 off, v[29:32], off offset:848
	v_dual_mov_b32 v25, v41 :: v_dual_mov_b32 v26, v42
	v_dual_mov_b32 v27, v43 :: v_dual_mov_b32 v28, v44
	;; [unrolled: 1-line block ×4, first 2 shown]
	ds_load_2addr_stride64_b64 v[41:44], v8 offset0:20 offset1:21
	ds_load_2addr_stride64_b64 v[45:48], v8 offset0:28 offset1:29
	s_waitcnt vmcnt(0)
	v_wmma_f32_16x16x16_f16 v[0:7], v[129:136], v[33:40], v[0:7]
	ds_load_b128 v[33:36], v243 offset:11776
	ds_load_b128 v[37:40], v243 offset:15872
	s_clause 0x1
	scratch_store_b128 off, v[0:3], off offset:32
	scratch_store_b128 off, v[4:7], off offset:48
	v_dual_mov_b32 v0, v165 :: v_dual_mov_b32 v1, v166
	v_dual_mov_b32 v2, v167 :: v_dual_mov_b32 v3, v168
	;; [unrolled: 1-line block ×4, first 2 shown]
	ds_load_b128 v[165:168], v243 offset:9216
	ds_load_b128 v[169:172], v243 offset:13312
	s_waitcnt lgkmcnt(2)
	s_clause 0x1
	scratch_store_b128 off, v[33:36], off offset:352
	scratch_store_b128 off, v[37:40], off offset:368
	ds_load_2addr_stride64_b64 v[33:36], v8 offset0:22 offset1:23
	ds_load_2addr_stride64_b64 v[37:40], v8 offset0:30 offset1:31
	; sched_barrier mask(0x00000000)
	v_dual_mov_b32 v181, v239 :: v_dual_mov_b32 v182, v240
	v_dual_mov_b32 v183, v9 :: v_dual_mov_b32 v184, v10
	;; [unrolled: 1-line block ×6, first 2 shown]
	s_delay_alu instid0(VALU_DEP_3)
	v_wmma_f32_16x16x16_f16 v[0:7], v[89:96], v[181:188], v[0:7]
	v_dual_mov_b32 v189, v191 :: v_dual_mov_b32 v190, v192
	v_dual_mov_b32 v191, v73 :: v_dual_mov_b32 v192, v74
	s_clause 0x1
	scratch_store_b128 off, v[0:3], off offset:800
	scratch_store_b128 off, v[4:7], off offset:816
	s_clause 0x1
	scratch_load_b128 v[0:3], off, off offset:608
	scratch_load_b128 v[4:7], off, off offset:624
	v_dual_mov_b32 v73, v193 :: v_dual_mov_b32 v74, v194
	v_dual_mov_b32 v193, v195 :: v_dual_mov_b32 v194, v196
	;; [unrolled: 1-line block ×3, first 2 shown]
	s_clause 0x1
	scratch_load_b128 v[129:132], off, off offset:320
	scratch_load_b128 v[133:136], off, off offset:336
	v_dual_mov_b32 v77, v197 :: v_dual_mov_b32 v78, v198
	v_wmma_f32_16x16x16_f16 v[231:238], v[113:120], v[9:16], v[231:238]
	v_wmma_f32_16x16x16_f16 v[25:32], v[113:120], v[189:196], v[25:32]
	s_delay_alu instid0(VALU_DEP_3)
	v_wmma_f32_16x16x16_f16 v[199:206], v[121:128], v[73:80], v[199:206]
	s_clause 0x1
	scratch_store_b128 off, v[231:234], off offset:448
	scratch_store_b128 off, v[235:238], off offset:464
	s_clause 0x1
	scratch_load_b128 v[234:237], off, off offset:992
	scratch_load_b128 v[238:241], off, off offset:1008
	s_clause 0x1
	scratch_store_b128 off, v[25:28], off offset:224
	scratch_store_b128 off, v[29:32], off offset:240
	v_mov_b32_e32 v25, v207
	scratch_store_b128 off, v[199:202], off offset:768 ; 16-byte Folded Spill
	v_dual_mov_b32 v26, v208 :: v_dual_mov_b32 v27, v209
	v_dual_mov_b32 v28, v210 :: v_dual_mov_b32 v29, v211
	;; [unrolled: 1-line block ×3, first 2 shown]
	v_mov_b32_e32 v32, v214
	scratch_store_b128 off, v[203:206], off offset:784 ; 16-byte Folded Spill
	s_clause 0x3
	scratch_load_b128 v[206:209], off, off offset:736
	scratch_load_b128 v[198:201], off, off offset:256
	;; [unrolled: 1-line block ×4, first 2 shown]
	v_wmma_f32_16x16x16_f16 v[25:32], v[121:128], v[181:188], v[25:32]
	s_waitcnt vmcnt(8)
	v_wmma_f32_16x16x16_f16 v[0:7], v[89:96], v[9:16], v[0:7]
	s_clause 0x1
	scratch_store_b128 off, v[0:3], off offset:608
	scratch_store_b128 off, v[4:7], off offset:624
	s_clause 0x1
	scratch_load_b128 v[0:3], off, off offset:544
	scratch_load_b128 v[4:7], off, off offset:560
	s_waitcnt vmcnt(8)
	v_wmma_f32_16x16x16_f16 v[49:56], v[129:136], v[181:188], v[49:56]
	v_wmma_f32_16x16x16_f16 v[57:64], v[129:136], v[9:16], v[57:64]
	;; [unrolled: 1-line block ×4, first 2 shown]
	s_clause 0x1
	scratch_load_b128 v[129:132], off, off offset:640
	scratch_load_b128 v[133:136], off, off offset:656
	s_waitcnt vmcnt(8)
	v_wmma_f32_16x16x16_f16 v[234:241], v[113:120], v[73:80], v[234:241]
	s_waitcnt vmcnt(5)
	v_wmma_f32_16x16x16_f16 v[206:213], v[17:24], v[181:188], v[206:213]
	;; [unrolled: 2-line block ×4, first 2 shown]
	s_clause 0x1
	scratch_store_b128 off, v[0:3], off offset:544
	scratch_store_b128 off, v[4:7], off offset:560
	s_clause 0x1
	scratch_load_b128 v[0:3], off, off offset:512
	scratch_load_b128 v[4:7], off, off offset:528
	s_waitcnt vmcnt(2)
	v_wmma_f32_16x16x16_f16 v[129:136], v[105:112], v[181:188], v[129:136]
	s_clause 0x1
	scratch_store_b128 off, v[129:132], off offset:640
	scratch_store_b128 off, v[133:136], off offset:656
	s_clause 0x1
	scratch_load_b128 v[129:132], off, off offset:96
	scratch_load_b128 v[133:136], off, off offset:112
	s_waitcnt vmcnt(2)
	v_wmma_f32_16x16x16_f16 v[0:7], v[89:96], v[73:80], v[0:7]
	s_clause 0x1
	scratch_load_b128 v[89:92], off, off offset:896
	scratch_load_b128 v[93:96], off, off offset:912
	s_clause 0x1
	scratch_store_b128 off, v[0:3], off offset:512
	scratch_store_b128 off, v[4:7], off offset:528
	s_clause 0x1
	scratch_load_b128 v[0:3], off, off offset:384
	scratch_load_b128 v[4:7], off, off offset:400
	s_waitcnt vmcnt(4)
	v_wmma_f32_16x16x16_f16 v[129:136], v[105:112], v[9:16], v[129:136]
	s_clause 0x1
	scratch_store_b128 off, v[129:132], off offset:96
	scratch_store_b128 off, v[133:136], off offset:112
	s_clause 0x1
	scratch_load_b128 v[129:132], off, off offset:672
	scratch_load_b128 v[133:136], off, off offset:688
	s_waitcnt vmcnt(4)
	v_wmma_f32_16x16x16_f16 v[89:96], v[97:104], v[189:196], v[89:96]
	;; [unrolled: 8-line block ×3, first 2 shown]
	scratch_store_b128 off, v[0:3], off offset:384 ; 16-byte Folded Spill
	s_waitcnt vmcnt(2)
	v_wmma_f32_16x16x16_f16 v[129:136], v[105:112], v[189:196], v[129:136]
	scratch_store_b128 off, v[4:7], off offset:400 ; 16-byte Folded Spill
	s_clause 0x1
	scratch_load_b128 v[0:3], off, off offset:480
	scratch_load_b128 v[4:7], off, off offset:496
	s_clause 0x1
	scratch_store_b128 off, v[129:132], off offset:672
	scratch_store_b128 off, v[133:136], off offset:688
	s_clause 0x1
	scratch_load_b128 v[129:132], off, off offset:128
	scratch_load_b128 v[133:136], off, off offset:144
	s_waitcnt vmcnt(4)
	v_wmma_f32_16x16x16_f16 v[89:96], v[97:104], v[73:80], v[89:96]
	s_clause 0x1
	scratch_store_b128 off, v[89:92], off offset:576
	scratch_store_b128 off, v[93:96], off offset:592
	s_clause 0x1
	scratch_load_b128 v[89:92], off, off offset:416
	scratch_load_b128 v[93:96], off, off offset:432
	s_waitcnt vmcnt(4)
	v_wmma_f32_16x16x16_f16 v[0:7], v[97:104], v[9:16], v[0:7]
	s_clause 0x1
	scratch_load_b128 v[97:100], off, off offset:192
	scratch_load_b128 v[101:104], off, off offset:208
	s_waitcnt vmcnt(4)
	v_wmma_f32_16x16x16_f16 v[129:136], v[105:112], v[73:80], v[129:136]
	s_clause 0x1
	scratch_load_b128 v[105:108], off, off offset:32
	scratch_load_b128 v[109:112], off, off offset:48
	s_clause 0x1
	scratch_store_b128 off, v[129:132], off offset:128
	scratch_store_b128 off, v[133:136], off offset:144
	s_clause 0x1
	scratch_load_b128 v[129:132], off, off offset:704
	scratch_load_b128 v[133:136], off, off offset:720
	s_waitcnt vmcnt(6)
	v_wmma_f32_16x16x16_f16 v[89:96], v[113:120], v[181:188], v[89:96]
	s_clause 0x1
	scratch_load_b128 v[113:116], off, off offset:960
	scratch_load_b128 v[117:120], off, off offset:976
	s_waitcnt vmcnt(6)
	v_wmma_f32_16x16x16_f16 v[97:104], v[81:88], v[9:16], v[97:104]
	s_clause 0x1
	scratch_store_b128 off, v[89:92], off offset:416
	scratch_store_b128 off, v[93:96], off offset:432
	s_clause 0x1
	scratch_load_b128 v[89:92], off, off
	scratch_load_b128 v[93:96], off, off offset:16
	s_waitcnt vmcnt(6)
	v_wmma_f32_16x16x16_f16 v[105:112], v[81:88], v[189:196], v[105:112]
	s_waitcnt vmcnt(4)
	v_wmma_f32_16x16x16_f16 v[129:136], v[121:128], v[9:16], v[129:136]
	v_dual_mov_b32 v9, v137 :: v_dual_mov_b32 v10, v138
	v_dual_mov_b32 v11, v41 :: v_dual_mov_b32 v12, v42
	;; [unrolled: 1-line block ×6, first 2 shown]
	s_clause 0x1
	scratch_load_b128 v[137:140], off, off offset:96
	scratch_load_b128 v[141:144], off, off offset:112
	v_wmma_f32_16x16x16_f16 v[49:56], v[149:156], v[9:16], v[49:56]
	v_wmma_f32_16x16x16_f16 v[57:64], v[149:156], v[41:48], v[57:64]
	;; [unrolled: 1-line block ×3, first 2 shown]
	s_clause 0x1
	scratch_store_b128 off, v[0:3], off offset:480
	scratch_store_b128 off, v[4:7], off offset:496
	s_clause 0x1
	scratch_load_b128 v[0:3], off, off offset:896
	scratch_load_b128 v[4:7], off, off offset:912
	s_waitcnt vmcnt(6)
	v_wmma_f32_16x16x16_f16 v[113:120], v[121:128], v[189:196], v[113:120]
	s_clause 0x1
	scratch_load_b128 v[121:124], off, off offset:928
	scratch_load_b128 v[125:128], off, off offset:944
	s_waitcnt vmcnt(6)
	v_wmma_f32_16x16x16_f16 v[89:96], v[17:24], v[189:196], v[89:96]
	s_clause 0x1
	scratch_load_b128 v[189:192], off, off offset:544
	scratch_load_b128 v[193:196], off, off offset:560
	s_clause 0x1
	scratch_store_b128 off, v[89:92], off
	scratch_store_b128 off, v[93:96], off offset:16
	s_clause 0x1
	scratch_load_b128 v[89:92], off, off offset:160
	scratch_load_b128 v[93:96], off, off offset:176
	s_waitcnt vmcnt(8)
	v_wmma_f32_16x16x16_f16 v[137:144], v[157:164], v[41:48], v[137:144]
	s_waitcnt vmcnt(4)
	v_wmma_f32_16x16x16_f16 v[121:128], v[81:88], v[73:80], v[121:128]
	;; [unrolled: 2-line block ×3, first 2 shown]
	v_dual_mov_b32 v17, v252 :: v_dual_mov_b32 v18, v253
	s_waitcnt lgkmcnt(1)
	v_dual_mov_b32 v19, v33 :: v_dual_mov_b32 v20, v34
	s_clause 0x1
	scratch_store_b128 off, v[89:92], off offset:160
	scratch_store_b128 off, v[93:96], off offset:176
	s_clause 0x1
	scratch_load_b128 v[89:92], off, off offset:64
	scratch_load_b128 v[93:96], off, off offset:80
	v_dual_mov_b32 v33, v254 :: v_dual_mov_b32 v34, v255
	v_dual_mov_b32 v21, v223 :: v_dual_mov_b32 v22, v224
	s_waitcnt lgkmcnt(0)
	v_dual_mov_b32 v23, v37 :: v_dual_mov_b32 v24, v38
	v_dual_mov_b32 v37, v225 :: v_dual_mov_b32 v38, v226
	s_clause 0x1
	scratch_load_b128 v[73:76], off, off offset:128
	scratch_load_b128 v[77:80], off, off offset:144
	v_wmma_f32_16x16x16_f16 v[65:72], v[149:156], v[17:24], v[65:72]
	scratch_load_b128 v[223:226], off, off offset:512 ; 16-byte Folded Reload
	v_wmma_f32_16x16x16_f16 v[244:251], v[149:156], v[33:40], v[244:251]
	s_clause 0x2
	scratch_load_b128 v[145:148], off, off offset:640
	scratch_load_b128 v[149:152], off, off offset:656
	;; [unrolled: 1-line block ×3, first 2 shown]
	v_wmma_f32_16x16x16_f16 v[189:196], v[165:172], v[17:24], v[189:196]
	v_wmma_f32_16x16x16_f16 v[0:7], v[173:180], v[17:24], v[0:7]
	;; [unrolled: 1-line block ×3, first 2 shown]
	s_clause 0x1
	scratch_store_b128 off, v[0:3], off offset:896
	scratch_store_b128 off, v[4:7], off offset:912
	s_clause 0x1
	scratch_load_b128 v[0:3], off, off offset:576
	scratch_load_b128 v[4:7], off, off offset:592
	s_waitcnt vmcnt(8)
	v_wmma_f32_16x16x16_f16 v[89:96], v[81:88], v[181:188], v[89:96]
	s_clause 0x3
	scratch_load_b128 v[81:84], off, off offset:672
	scratch_load_b128 v[85:88], off, off offset:688
	;; [unrolled: 1-line block ×4, first 2 shown]
	s_waitcnt vmcnt(10)
	v_wmma_f32_16x16x16_f16 v[73:80], v[157:164], v[33:40], v[73:80]
	s_waitcnt vmcnt(7)
	v_wmma_f32_16x16x16_f16 v[145:152], v[157:164], v[9:16], v[145:152]
	;; [unrolled: 2-line block ×5, first 2 shown]
	s_clause 0x1
	scratch_load_b128 v[153:156], off, off offset:800
	scratch_load_b128 v[157:160], off, off offset:816
	s_waitcnt vmcnt(2)
	v_wmma_f32_16x16x16_f16 v[181:188], v[165:172], v[41:48], v[181:188]
	s_waitcnt vmcnt(0)
	v_wmma_f32_16x16x16_f16 v[153:160], v[165:172], v[9:16], v[153:160]
	s_clause 0x1
	scratch_load_b128 v[161:164], off, off offset:384
	scratch_load_b128 v[165:168], off, off offset:400
	s_waitcnt vmcnt(0)
	v_wmma_f32_16x16x16_f16 v[161:168], v[173:180], v[9:16], v[161:168]
	s_clause 0x1
	scratch_store_b128 off, v[161:164], off offset:384
	scratch_store_b128 off, v[165:168], off offset:400
	s_clause 0x1
	scratch_load_b128 v[161:164], off, off offset:416
	scratch_load_b128 v[165:168], off, off offset:432
	s_waitcnt vmcnt(0)
	v_wmma_f32_16x16x16_f16 v[161:168], v[215:222], v[9:16], v[161:168]
	s_clause 0x1
	scratch_store_b128 off, v[161:164], off offset:416
	scratch_store_b128 off, v[165:168], off offset:432
	;; [unrolled: 8-line block ×3, first 2 shown]
	s_clause 0x1
	scratch_load_b128 v[161:164], off, off offset:224
	scratch_load_b128 v[165:168], off, off offset:240
	s_waitcnt vmcnt(0)
	v_wmma_f32_16x16x16_f16 v[161:168], v[215:222], v[17:24], v[161:168]
	s_clause 0x1
	scratch_load_b128 v[214:217], off, off offset:768
	scratch_load_b128 v[218:221], off, off offset:784
	s_clause 0x1
	scratch_store_b128 off, v[161:164], off offset:224
	scratch_store_b128 off, v[165:168], off offset:240
	s_clause 0x1
	scratch_load_b128 v[161:164], off, off offset:864
	scratch_load_b128 v[165:168], off, off offset:880
	s_waitcnt vmcnt(0)
	v_nop
	v_wmma_f32_16x16x16_f16 v[25:32], v[161:168], v[9:16], v[25:32]
	v_wmma_f32_16x16x16_f16 v[129:136], v[161:168], v[41:48], v[129:136]
	;; [unrolled: 1-line block ×4, first 2 shown]
	scratch_load_b128 v[167:170], off, off  ; 16-byte Folded Reload
	s_clause 0x1
	scratch_store_b128 off, v[25:28], off offset:288
	scratch_store_b128 off, v[29:32], off offset:304
	s_clause 0x2
	scratch_load_b128 v[25:28], off, off offset:832
	scratch_load_b128 v[29:32], off, off offset:848
	;; [unrolled: 1-line block ×3, first 2 shown]
	s_clause 0x3
	scratch_store_b128 off, v[113:116], off offset:960
	scratch_store_b128 off, v[117:120], off offset:976
	;; [unrolled: 1-line block ×4, first 2 shown]
	s_waitcnt vmcnt(1)
	v_mov_b32_e32 v120, v32
	v_wmma_f32_16x16x16_f16 v[206:213], v[25:32], v[9:16], v[206:213]
	v_wmma_f32_16x16x16_f16 v[198:205], v[25:32], v[41:48], v[198:205]
	s_waitcnt vmcnt(0)
	v_wmma_f32_16x16x16_f16 v[167:174], v[25:32], v[17:24], v[167:174]
	v_dual_mov_b32 v119, v31 :: v_dual_mov_b32 v118, v30
	v_dual_mov_b32 v117, v29 :: v_dual_mov_b32 v116, v28
	;; [unrolled: 1-line block ×3, first 2 shown]
	v_mov_b32_e32 v113, v25
	s_clause 0x1
	scratch_load_b128 v[25:28], off, off offset:160
	scratch_load_b128 v[29:32], off, off offset:176
	s_waitcnt vmcnt(0)
	v_wmma_f32_16x16x16_f16 v[25:32], v[113:120], v[33:40], v[25:32]
	s_clause 0x1
	scratch_load_b128 v[113:116], off, off offset:352
	scratch_load_b128 v[117:120], off, off offset:368
	s_waitcnt vmcnt(0)
	v_wmma_f32_16x16x16_f16 v[89:96], v[113:120], v[9:16], v[89:96]
	v_wmma_f32_16x16x16_f16 v[97:104], v[113:120], v[41:48], v[97:104]
	;; [unrolled: 1-line block ×4, first 2 shown]
	; sched_group_barrier mask(0x00000008) size(64) SyncID(0)
	s_clause 0x7
	scratch_store_b128 off, v[89:92], off offset:64
	scratch_store_b128 off, v[93:96], off offset:80
	;; [unrolled: 1-line block ×8, first 2 shown]
	; sched_barrier mask(0x00000000)
	v_dual_mov_b32 v17, v25 :: v_dual_mov_b32 v18, v26
	v_dual_mov_b32 v19, v27 :: v_dual_mov_b32 v20, v28
	v_dual_mov_b32 v21, v29 :: v_dual_mov_b32 v22, v30
	v_dual_mov_b32 v23, v31 :: v_dual_mov_b32 v24, v32
	v_cvt_f16_f32_e64 v28, v156
	scratch_load_b32 v156, off, off offset:1696 ; 4-byte Folded Reload
	v_cvt_f16_f32_e64 v29, v157
	scratch_load_b32 v157, off, off offset:1700 ; 4-byte Folded Reload
	v_cvt_f16_f32_e64 v255, v72
	v_mov_b32_e32 v72, v188
	v_cvt_f16_f32_e64 v253, v245
	v_mov_b32_e32 v32, v80
	v_cvt_f16_f32_e32 v97, v0
	v_cvt_f16_f32_e32 v98, v1
	v_cvt_f16_f32_e64 v245, v72
	v_mov_b32_e32 v72, v196
	v_cvt_f16_f32_e32 v40, v32
	v_mov_b32_e32 v32, v88
	v_cvt_f16_f32_e32 v99, v2
	v_cvt_f16_f32_e32 v100, v3
	;; [unrolled: 1-line block ×3, first 2 shown]
	v_mov_b32_e32 v72, v230
	v_cvt_f16_f32_e32 v101, v4
	v_cvt_f16_f32_e32 v102, v5
	;; [unrolled: 1-line block ×3, first 2 shown]
	v_cvt_f16_f32_e64 v161, v65
	v_cvt_f16_f32_e32 v96, v72
	v_mov_b32_e32 v72, v7
	s_clause 0x1
	scratch_load_b128 v[0:3], off, off offset:224
	scratch_load_b128 v[4:7], off, off offset:240
	v_cvt_f16_f32_e64 v162, v66
	v_cvt_f16_f32_e64 v163, v67
	;; [unrolled: 1-line block ×6, first 2 shown]
	v_cvt_f16_f32_e32 v104, v72
	s_clause 0x2
	scratch_load_b128 v[65:68], off, off offset:896
	scratch_load_b128 v[69:72], off, off offset:912
	;; [unrolled: 1-line block ×3, first 2 shown]
	v_cvt_f16_f32_e32 v11, v59
	v_cvt_f16_f32_e64 v59, v147
	scratch_load_b128 v[119:122], off, off offset:496 ; 16-byte Folded Reload
	s_waitcnt vmcnt(5)
	v_cvt_f16_f32_e64 v147, v0
	v_cvt_f16_f32_e64 v27, v155
	;; [unrolled: 1-line block ×3, first 2 shown]
	v_cvt_f16_f32_e32 v12, v60
	v_cvt_f16_f32_e64 v60, v148
	v_cvt_f16_f32_e64 v148, v1
	scratch_load_b128 v[123:126], off, off offset:384 ; 16-byte Folded Reload
	v_cvt_f16_f32_e64 v175, v49
	v_cvt_f16_f32_e64 v176, v50
	;; [unrolled: 1-line block ×7, first 2 shown]
	v_cvt_f16_f32_e32 v8, v56
	v_cvt_f16_f32_e32 v48, v32
	v_mov_b32_e32 v32, v144
	scratch_load_b128 v[127:130], off, off offset:400 ; 16-byte Folded Reload
	v_cvt_f16_f32_e32 v9, v57
	v_cvt_f16_f32_e32 v10, v58
	v_cvt_f16_f32_e64 v49, v137
	v_cvt_f16_f32_e64 v50, v138
	;; [unrolled: 1-line block ×9, first 2 shown]
	s_clause 0x1
	scratch_load_b128 v[131:134], off, off offset:416
	scratch_load_b128 v[139:142], off, off offset:448
	v_cvt_f16_f32_e32 v13, v61
	v_cvt_f16_f32_e32 v14, v62
	;; [unrolled: 1-line block ×4, first 2 shown]
	v_cvt_f16_f32_e64 v61, v149
	v_cvt_f16_f32_e64 v62, v150
	v_cvt_f16_f32_e64 v63, v151
	v_mov_b32_e32 v32, v152
	s_clause 0x1
	scratch_load_b128 v[135:138], off, off offset:432
	scratch_load_b128 v[143:146], off, off offset:464
	v_cvt_f16_f32_e64 v149, v2
	v_cvt_f16_f32_e64 v150, v3
	s_waitcnt vmcnt(0) lgkmcnt(0)
	s_waitcnt_vscnt null, 0x0
	s_barrier
	v_cvt_f16_f32_e32 v16, v64
	v_cvt_f16_f32_e64 v25, v153
	v_cvt_f16_f32_e64 v252, v244
	;; [unrolled: 1-line block ×9, first 2 shown]
	v_cvt_f16_f32_e32 v33, v73
	v_cvt_f16_f32_e32 v34, v74
	;; [unrolled: 1-line block ×15, first 2 shown]
	v_mov_b32_e32 v32, v160
	v_cvt_f16_f32_e64 v31, v159
	v_cvt_f16_f32_e64 v73, v181
	;; [unrolled: 1-line block ×4, first 2 shown]
	v_cvt_f16_f32_e32 v32, v32
	v_cvt_f16_f32_e64 v233, v184
	v_cvt_f16_f32_e64 v242, v185
	;; [unrolled: 1-line block ×18, first 2 shown]
	v_cvt_f16_f32_e32 v107, v65
	v_cvt_f16_f32_e32 v108, v66
	;; [unrolled: 1-line block ×12, first 2 shown]
	v_cvt_f16_f32_e64 v131, v131
	v_cvt_f16_f32_e64 v132, v132
	;; [unrolled: 1-line block ×8, first 2 shown]
	v_lshlrev_b32_e32 v0, 5, v156
	v_lshrrev_b32_e32 v105, 1, v156
	v_and_b32_e32 v106, 15, v156
	v_lshrrev_b32_e32 v156, 3, v156
	s_delay_alu instid0(VALU_DEP_4) | instskip(NEXT) | instid1(VALU_DEP_2)
	v_and_b32_e32 v0, 0x200, v0
	v_lshl_or_b32 v158, s2, 8, v156
	s_add_i32 s2, s5, s4
	s_delay_alu instid0(VALU_DEP_2) | instskip(SKIP_4) | instid1(VALU_DEP_2)
	v_and_or_b32 v0, v105, 48, v0
	v_and_b32_e32 v105, 0x400, v157
	v_and_b32_e32 v157, 56, v157
	s_lshl_b32 s2, s2, 1
	s_lshl_b32 s4, s21, 5
	v_or3_b32 v155, v0, v105, v106
	s_delay_alu instid0(VALU_DEP_2) | instskip(SKIP_1) | instid1(VALU_DEP_1)
	v_or_b32_e32 v0, s3, v157
	s_mov_b32 s3, 0x31004000
	v_mad_u64_u32 v[105:106], null, v158, s21, v[0:1]
	v_lshlrev_b32_e32 v1, 1, v157
	v_lshlrev_b32_e32 v0, 1, v155
	v_cvt_f16_f32_e64 v151, v4
	v_cvt_f16_f32_e64 v152, v5
	v_cvt_f16_f32_e64 v153, v6
	v_lshl_or_b32 v1, v156, 7, v1
	ds_store_b16 v0, v175
	ds_store_b16 v0, v176 offset:128
	ds_store_b16 v0, v177 offset:256
	;; [unrolled: 1-line block ×7, first 2 shown]
	s_waitcnt lgkmcnt(0)
	s_barrier
	ds_load_2addr_b64 v[2:5], v1 offset1:1
	v_lshlrev_b32_e32 v6, 1, v105
	v_cvt_f16_f32_e64 v154, v7
	v_add_nc_u32_e32 v7, 0xc0, v105
	v_cvt_f16_f32_e32 v111, v69
	v_cvt_f16_f32_e32 v112, v70
	;; [unrolled: 1-line block ×4, first 2 shown]
	v_lshlrev_b32_e32 v8, 1, v7
	v_cvt_f16_f32_e32 v119, v119
	v_cvt_f16_f32_e32 v120, v120
	v_cvt_f16_f32_e32 v121, v121
	v_cvt_f16_f32_e32 v122, v122
	v_cvt_f16_f32_e32 v127, v127
	v_cvt_f16_f32_e64 v128, v128
	v_cvt_f16_f32_e64 v129, v129
	;; [unrolled: 1-line block ×3, first 2 shown]
	s_waitcnt lgkmcnt(0)
	buffer_store_b128 v[2:5], v6, s[0:3], 0 offen
	s_waitcnt lgkmcnt(0)
	s_waitcnt_vscnt null, 0x0
	s_barrier
	ds_store_b16 v0, v9
	ds_store_b16 v0, v10 offset:128
	ds_store_b16 v0, v11 offset:256
	;; [unrolled: 1-line block ×7, first 2 shown]
	s_waitcnt lgkmcnt(0)
	s_barrier
	ds_load_2addr_b64 v[2:5], v1 offset1:1
	v_mov_b32_e32 v15, v241
	v_cvt_f16_f32_e64 v10, v240
	v_mov_b32_e32 v16, v221
	v_cvt_f16_f32_e64 v135, v135
	v_cvt_f16_f32_e64 v136, v136
	;; [unrolled: 1-line block ×8, first 2 shown]
	v_cvt_f16_f32_e32 v11, v15
	s_waitcnt lgkmcnt(0)
	buffer_store_b128 v[2:5], v6, s[0:3], 0 offen offset:128
	s_waitcnt lgkmcnt(0)
	s_waitcnt_vscnt null, 0x0
	s_barrier
	ds_store_b16 v0, v161
	ds_store_b16 v0, v162 offset:128
	ds_store_b16 v0, v163 offset:256
	;; [unrolled: 1-line block ×7, first 2 shown]
	s_waitcnt lgkmcnt(0)
	s_barrier
	ds_load_2addr_b64 v[2:5], v1 offset1:1
	s_waitcnt lgkmcnt(0)
	buffer_store_b128 v[2:5], v6, s[0:3], 0 offen offset:256
	s_waitcnt lgkmcnt(0)
	s_waitcnt_vscnt null, 0x0
	s_barrier
	ds_store_b16 v0, v252
	ds_store_b16 v0, v253 offset:128
	ds_store_b16 v0, v246 offset:256
	;; [unrolled: 1-line block ×7, first 2 shown]
	s_waitcnt lgkmcnt(0)
	s_barrier
	ds_load_2addr_b64 v[2:5], v1 offset1:1
	s_waitcnt lgkmcnt(0)
	s_clause 0x1
	buffer_store_b64 v[2:3], v8, s[0:3], 0 offen
	buffer_store_b64 v[4:5], v6, s[0:3], 0 offen offset:392
	s_waitcnt lgkmcnt(0)
	s_waitcnt_vscnt null, 0x0
	s_barrier
	ds_store_b16 v0, v33
	ds_store_b16 v0, v34 offset:128
	ds_store_b16 v0, v35 offset:256
	;; [unrolled: 1-line block ×7, first 2 shown]
	s_waitcnt lgkmcnt(0)
	s_barrier
	ds_load_2addr_b64 v[2:5], v1 offset1:1
	v_add_lshl_u32 v6, v7, s4, 1
	s_delay_alu instid0(VALU_DEP_1)
	v_add_nc_u32_e32 v7, 0xffffff80, v6
	s_waitcnt lgkmcnt(0)
	buffer_store_b128 v[2:5], v6, s[0:3], 0 offen
	s_waitcnt lgkmcnt(0)
	s_waitcnt_vscnt null, 0x0
	s_barrier
	ds_store_b16 v0, v41
	ds_store_b16 v0, v42 offset:128
	ds_store_b16 v0, v43 offset:256
	;; [unrolled: 1-line block ×7, first 2 shown]
	s_waitcnt lgkmcnt(0)
	s_barrier
	ds_load_2addr_b64 v[2:5], v1 offset1:1
	s_waitcnt lgkmcnt(0)
	buffer_store_b64 v[2:3], v7, s[0:3], 0 offen
	v_add_nc_u32_e32 v2, 0xffffff88, v6
	v_add_nc_u32_e32 v7, 0xffffff00, v6
	buffer_store_b64 v[4:5], v2, s[0:3], 0 offen
	s_waitcnt lgkmcnt(0)
	s_waitcnt_vscnt null, 0x0
	s_barrier
	ds_store_b16 v0, v49
	ds_store_b16 v0, v50 offset:128
	ds_store_b16 v0, v51 offset:256
	ds_store_b16 v0, v52 offset:384
	ds_store_b16 v0, v53 offset:512
	ds_store_b16 v0, v54 offset:640
	ds_store_b16 v0, v55 offset:768
	ds_store_b16 v0, v56 offset:896
	s_waitcnt lgkmcnt(0)
	s_barrier
	ds_load_2addr_b64 v[2:5], v1 offset1:1
	s_waitcnt lgkmcnt(0)
	buffer_store_b64 v[2:3], v7, s[0:3], 0 offen
	v_add_nc_u32_e32 v2, 0xffffff08, v6
	v_add_nc_u32_e32 v6, s4, v105
	buffer_store_b64 v[4:5], v2, s[0:3], 0 offen
	s_waitcnt lgkmcnt(0)
	s_waitcnt_vscnt null, 0x0
	s_barrier
	ds_store_b16 v0, v57
	ds_store_b16 v0, v58 offset:128
	ds_store_b16 v0, v59 offset:256
	;; [unrolled: 1-line block ×7, first 2 shown]
	s_waitcnt lgkmcnt(0)
	s_barrier
	ds_load_2addr_b64 v[2:5], v1 offset1:1
	v_lshlrev_b32_e32 v7, 1, v6
	v_add_nc_u32_e32 v6, s4, v6
	s_delay_alu instid0(VALU_DEP_1) | instskip(NEXT) | instid1(VALU_DEP_1)
	v_add_nc_u32_e32 v8, 0xc0, v6
	v_lshlrev_b32_e32 v9, 1, v8
	s_waitcnt lgkmcnt(0)
	buffer_store_b128 v[2:5], v7, s[0:3], 0 offen
	s_waitcnt lgkmcnt(0)
	s_waitcnt_vscnt null, 0x0
	s_barrier
	ds_store_b16 v0, v25
	ds_store_b16 v0, v26 offset:128
	ds_store_b16 v0, v27 offset:256
	;; [unrolled: 1-line block ×7, first 2 shown]
	s_waitcnt lgkmcnt(0)
	s_barrier
	ds_load_2addr_b64 v[2:5], v1 offset1:1
	v_lshlrev_b32_e32 v7, 1, v6
	v_add_nc_u32_e32 v6, s4, v6
	s_waitcnt lgkmcnt(0)
	buffer_store_b128 v[2:5], v7, s[0:3], 0 offen
	s_waitcnt lgkmcnt(0)
	s_waitcnt_vscnt null, 0x0
	s_barrier
	ds_store_b16 v0, v73
	ds_store_b16 v0, v231 offset:128
	ds_store_b16 v0, v232 offset:256
	;; [unrolled: 1-line block ×7, first 2 shown]
	s_waitcnt lgkmcnt(0)
	s_barrier
	ds_load_2addr_b64 v[2:5], v1 offset1:1
	s_waitcnt lgkmcnt(0)
	buffer_store_b128 v[2:5], v7, s[0:3], 0 offen offset:128
	s_waitcnt lgkmcnt(0)
	s_waitcnt_vscnt null, 0x0
	s_barrier
	ds_store_b16 v0, v81
	ds_store_b16 v0, v82 offset:128
	ds_store_b16 v0, v83 offset:256
	;; [unrolled: 1-line block ×7, first 2 shown]
	s_waitcnt lgkmcnt(0)
	s_barrier
	ds_load_2addr_b64 v[2:5], v1 offset1:1
	s_waitcnt lgkmcnt(0)
	buffer_store_b128 v[2:5], v7, s[0:3], 0 offen offset:256
	s_waitcnt lgkmcnt(0)
	s_waitcnt_vscnt null, 0x0
	s_barrier
	ds_store_b16 v0, v89
	ds_store_b16 v0, v90 offset:128
	ds_store_b16 v0, v91 offset:256
	;; [unrolled: 1-line block ×7, first 2 shown]
	s_waitcnt lgkmcnt(0)
	s_barrier
	ds_load_2addr_b64 v[2:5], v1 offset1:1
	s_waitcnt lgkmcnt(0)
	s_clause 0x1
	buffer_store_b64 v[2:3], v9, s[0:3], 0 offen
	buffer_store_b64 v[4:5], v7, s[0:3], 0 offen offset:392
	s_waitcnt lgkmcnt(0)
	s_waitcnt_vscnt null, 0x0
	s_barrier
	ds_store_b16 v0, v97
	ds_store_b16 v0, v98 offset:128
	ds_store_b16 v0, v99 offset:256
	;; [unrolled: 1-line block ×7, first 2 shown]
	s_waitcnt lgkmcnt(0)
	s_barrier
	ds_load_2addr_b64 v[2:5], v1 offset1:1
	v_add_lshl_u32 v7, v8, s4, 1
	v_cvt_f16_f32_e64 v9, v239
	s_delay_alu instid0(VALU_DEP_2)
	v_add_nc_u32_e32 v8, 0xffffff80, v7
	s_waitcnt lgkmcnt(0)
	buffer_store_b128 v[2:5], v7, s[0:3], 0 offen
	s_waitcnt lgkmcnt(0)
	s_waitcnt_vscnt null, 0x0
	s_barrier
	ds_store_b16 v0, v107
	ds_store_b16 v0, v108 offset:128
	ds_store_b16 v0, v109 offset:256
	;; [unrolled: 1-line block ×7, first 2 shown]
	s_waitcnt lgkmcnt(0)
	s_barrier
	ds_load_2addr_b64 v[2:5], v1 offset1:1
	s_waitcnt lgkmcnt(0)
	buffer_store_b64 v[2:3], v8, s[0:3], 0 offen
	v_add_nc_u32_e32 v2, 0xffffff88, v7
	v_add_nc_u32_e32 v8, 0xffffff00, v7
	buffer_store_b64 v[4:5], v2, s[0:3], 0 offen
	s_waitcnt lgkmcnt(0)
	s_waitcnt_vscnt null, 0x0
	s_barrier
	ds_store_b16 v0, v115
	ds_store_b16 v0, v116 offset:128
	ds_store_b16 v0, v117 offset:256
	;; [unrolled: 1-line block ×7, first 2 shown]
	s_waitcnt lgkmcnt(0)
	s_barrier
	ds_load_2addr_b64 v[2:5], v1 offset1:1
	s_waitcnt lgkmcnt(0)
	buffer_store_b64 v[2:3], v8, s[0:3], 0 offen
	v_add_nc_u32_e32 v2, 0xffffff08, v7
	v_lshlrev_b32_e32 v7, 1, v6
	v_cvt_f16_f32_e64 v8, v238
	buffer_store_b64 v[4:5], v2, s[0:3], 0 offen
	s_waitcnt lgkmcnt(0)
	s_waitcnt_vscnt null, 0x0
	s_barrier
	ds_store_b16 v0, v123
	ds_store_b16 v0, v124 offset:128
	ds_store_b16 v0, v125 offset:256
	;; [unrolled: 1-line block ×7, first 2 shown]
	s_waitcnt lgkmcnt(0)
	s_barrier
	ds_load_2addr_b64 v[2:5], v1 offset1:1
	s_waitcnt lgkmcnt(0)
	buffer_store_b128 v[2:5], v7, s[0:3], 0 offen
	s_waitcnt lgkmcnt(0)
	s_waitcnt_vscnt null, 0x0
	s_barrier
	ds_store_b16 v0, v131
	ds_store_b16 v0, v132 offset:128
	ds_store_b16 v0, v133 offset:256
	;; [unrolled: 1-line block ×7, first 2 shown]
	v_add_nc_u32_e32 v2, s4, v6
	s_waitcnt lgkmcnt(0)
	s_barrier
	ds_load_2addr_b64 v[3:6], v1 offset1:1
	v_lshlrev_b32_e32 v7, 1, v2
	s_waitcnt lgkmcnt(0)
	buffer_store_b128 v[3:6], v7, s[0:3], 0 offen
	s_waitcnt lgkmcnt(0)
	s_waitcnt_vscnt null, 0x0
	s_barrier
	ds_store_b16 v0, v139
	ds_store_b16 v0, v140 offset:128
	ds_store_b16 v0, v141 offset:256
	;; [unrolled: 1-line block ×7, first 2 shown]
	s_waitcnt lgkmcnt(0)
	s_barrier
	ds_load_2addr_b64 v[3:6], v1 offset1:1
	s_waitcnt lgkmcnt(0)
	buffer_store_b128 v[3:6], v7, s[0:3], 0 offen offset:128
	s_waitcnt lgkmcnt(0)
	s_waitcnt_vscnt null, 0x0
	s_barrier
	ds_store_b16 v0, v147
	ds_store_b16 v0, v148 offset:128
	ds_store_b16 v0, v149 offset:256
	;; [unrolled: 1-line block ×7, first 2 shown]
	s_waitcnt lgkmcnt(0)
	s_barrier
	ds_load_2addr_b64 v[3:6], v1 offset1:1
	s_waitcnt lgkmcnt(0)
	buffer_store_b128 v[3:6], v7, s[0:3], 0 offen offset:256
	v_cvt_f16_f32_e64 v3, v234
	v_cvt_f16_f32_e64 v4, v235
	;; [unrolled: 1-line block ×4, first 2 shown]
	s_waitcnt lgkmcnt(0)
	s_waitcnt_vscnt null, 0x0
	s_barrier
	ds_store_b16 v0, v3
	ds_store_b16 v0, v4 offset:128
	ds_store_b16 v0, v5 offset:256
	;; [unrolled: 1-line block ×7, first 2 shown]
	s_waitcnt lgkmcnt(0)
	s_barrier
	ds_load_2addr_b64 v[3:6], v1 offset1:1
	v_add_nc_u32_e32 v8, 0xc0, v2
	v_cvt_f16_f32_e64 v10, v220
	v_cvt_f16_f32_e32 v11, v16
	s_delay_alu instid0(VALU_DEP_3)
	v_lshlrev_b32_e32 v9, 1, v8
	s_waitcnt lgkmcnt(0)
	s_clause 0x1
	buffer_store_b64 v[3:4], v9, s[0:3], 0 offen
	buffer_store_b64 v[5:6], v7, s[0:3], 0 offen offset:392
	v_cvt_f16_f32_e64 v3, v214
	v_cvt_f16_f32_e64 v4, v215
	;; [unrolled: 1-line block ×6, first 2 shown]
	s_waitcnt lgkmcnt(0)
	s_waitcnt_vscnt null, 0x0
	s_barrier
	ds_store_b16 v0, v3
	ds_store_b16 v0, v4 offset:128
	ds_store_b16 v0, v5 offset:256
	;; [unrolled: 1-line block ×7, first 2 shown]
	s_waitcnt lgkmcnt(0)
	s_barrier
	ds_load_2addr_b64 v[3:6], v1 offset1:1
	v_add_lshl_u32 v7, v8, s4, 1
	s_waitcnt lgkmcnt(0)
	buffer_store_b128 v[3:6], v7, s[0:3], 0 offen
	s_waitcnt lgkmcnt(0)
	s_waitcnt_vscnt null, 0x0
	s_barrier
	s_clause 0x1
	scratch_load_b128 v[8:11], off, off offset:960
	scratch_load_b128 v[12:15], off, off offset:976
	s_waitcnt vmcnt(1)
	v_cvt_f16_f32_e32 v3, v8
	v_cvt_f16_f32_e32 v4, v9
	;; [unrolled: 1-line block ×4, first 2 shown]
	ds_store_b16 v0, v3
	ds_store_b16 v0, v4 offset:128
	ds_store_b16 v0, v5 offset:256
	;; [unrolled: 1-line block ×3, first 2 shown]
	s_waitcnt vmcnt(0)
	v_cvt_f16_f32_e32 v8, v12
	v_cvt_f16_f32_e32 v9, v13
	;; [unrolled: 1-line block ×4, first 2 shown]
	ds_store_b16 v0, v8 offset:512
	ds_store_b16 v0, v9 offset:640
	;; [unrolled: 1-line block ×4, first 2 shown]
	s_waitcnt lgkmcnt(0)
	s_barrier
	ds_load_2addr_b64 v[3:6], v1 offset1:1
	v_add_nc_u32_e32 v8, 0xffffff80, v7
	v_add_nc_u32_e32 v9, 0xffffff88, v7
	s_waitcnt lgkmcnt(0)
	s_clause 0x1
	buffer_store_b64 v[3:4], v8, s[0:3], 0 offen
	buffer_store_b64 v[5:6], v9, s[0:3], 0 offen
	s_waitcnt lgkmcnt(0)
	s_waitcnt_vscnt null, 0x0
	s_barrier
	s_clause 0x1
	scratch_load_b128 v[8:11], off, off offset:704
	scratch_load_b128 v[12:15], off, off offset:720
	s_waitcnt vmcnt(1)
	v_cvt_f16_f32_e32 v3, v8
	v_cvt_f16_f32_e32 v4, v9
	;; [unrolled: 1-line block ×4, first 2 shown]
	ds_store_b16 v0, v3
	ds_store_b16 v0, v4 offset:128
	ds_store_b16 v0, v5 offset:256
	;; [unrolled: 1-line block ×3, first 2 shown]
	s_waitcnt vmcnt(0)
	v_cvt_f16_f32_e32 v8, v12
	v_cvt_f16_f32_e32 v9, v13
	;; [unrolled: 1-line block ×4, first 2 shown]
	v_mov_b32_e32 v15, v213
	ds_store_b16 v0, v8 offset:512
	ds_store_b16 v0, v9 offset:640
	;; [unrolled: 1-line block ×4, first 2 shown]
	s_waitcnt lgkmcnt(0)
	s_barrier
	ds_load_2addr_b64 v[3:6], v1 offset1:1
	v_add_nc_u32_e32 v8, 0xffffff00, v7
	v_add_nc_u32_e32 v7, 0xffffff08, v7
	s_waitcnt lgkmcnt(0)
	s_clause 0x1
	buffer_store_b64 v[3:4], v8, s[0:3], 0 offen
	buffer_store_b64 v[5:6], v7, s[0:3], 0 offen
	s_waitcnt lgkmcnt(0)
	s_waitcnt_vscnt null, 0x0
	s_barrier
	s_clause 0x1
	scratch_load_b128 v[3:6], off, off offset:288
	scratch_load_b128 v[7:10], off, off offset:304
	s_waitcnt vmcnt(1)
	v_cvt_f16_f32_e32 v3, v3
	v_cvt_f16_f32_e32 v4, v4
	;; [unrolled: 1-line block ×4, first 2 shown]
	ds_store_b16 v0, v3
	ds_store_b16 v0, v4 offset:128
	ds_store_b16 v0, v5 offset:256
	;; [unrolled: 1-line block ×3, first 2 shown]
	s_waitcnt vmcnt(0)
	v_cvt_f16_f32_e32 v7, v7
	v_cvt_f16_f32_e32 v8, v8
	;; [unrolled: 1-line block ×4, first 2 shown]
	ds_store_b16 v0, v7 offset:512
	ds_store_b16 v0, v8 offset:640
	;; [unrolled: 1-line block ×4, first 2 shown]
	s_waitcnt lgkmcnt(0)
	s_barrier
	ds_load_2addr_b64 v[3:6], v1 offset1:1
	v_add_nc_u32_e32 v7, s4, v2
	v_cvt_f16_f32_e64 v8, v211
	v_cvt_f16_f32_e64 v9, v212
	v_cvt_f16_f32_e32 v10, v15
	s_delay_alu instid0(VALU_DEP_4) | instskip(NEXT) | instid1(VALU_DEP_1)
	v_dual_mov_b32 v15, v205 :: v_dual_lshlrev_b32 v2, 1, v7
	v_cvt_f16_f32_e32 v11, v15
	s_waitcnt lgkmcnt(0)
	buffer_store_b128 v[3:6], v2, s[0:3], 0 offen
	v_cvt_f16_f32_e64 v2, v206
	v_cvt_f16_f32_e64 v3, v207
	;; [unrolled: 1-line block ×5, first 2 shown]
	s_waitcnt lgkmcnt(0)
	s_waitcnt_vscnt null, 0x0
	s_barrier
	ds_store_b16 v0, v2
	ds_store_b16 v0, v3 offset:128
	ds_store_b16 v0, v4 offset:256
	;; [unrolled: 1-line block ×7, first 2 shown]
	s_waitcnt lgkmcnt(0)
	s_barrier
	ds_load_2addr_b64 v[2:5], v1 offset1:1
	v_add_nc_u32_e32 v6, s4, v7
	v_cvt_f16_f32_e64 v8, v202
	v_cvt_f16_f32_e64 v9, v203
	v_cvt_f16_f32_e64 v10, v204
	s_delay_alu instid0(VALU_DEP_4)
	v_lshlrev_b32_e32 v7, 1, v6
	s_waitcnt lgkmcnt(0)
	buffer_store_b128 v[2:5], v7, s[0:3], 0 offen
	v_cvt_f16_f32_e64 v2, v198
	v_cvt_f16_f32_e64 v3, v199
	;; [unrolled: 1-line block ×4, first 2 shown]
	s_waitcnt lgkmcnt(0)
	s_waitcnt_vscnt null, 0x0
	s_barrier
	ds_store_b16 v0, v2
	ds_store_b16 v0, v3 offset:128
	ds_store_b16 v0, v4 offset:256
	;; [unrolled: 1-line block ×7, first 2 shown]
	s_waitcnt lgkmcnt(0)
	s_barrier
	ds_load_2addr_b64 v[2:5], v1 offset1:1
	v_cvt_f16_f32_e64 v8, v171
	v_cvt_f16_f32_e64 v9, v172
	;; [unrolled: 1-line block ×4, first 2 shown]
	s_waitcnt lgkmcnt(0)
	buffer_store_b128 v[2:5], v7, s[0:3], 0 offen offset:128
	v_cvt_f16_f32_e64 v2, v167
	v_cvt_f16_f32_e64 v3, v168
	;; [unrolled: 1-line block ×4, first 2 shown]
	s_waitcnt lgkmcnt(0)
	s_waitcnt_vscnt null, 0x0
	s_barrier
	ds_store_b16 v0, v2
	ds_store_b16 v0, v3 offset:128
	ds_store_b16 v0, v4 offset:256
	;; [unrolled: 1-line block ×7, first 2 shown]
	s_waitcnt lgkmcnt(0)
	s_barrier
	ds_load_2addr_b64 v[2:5], v1 offset1:1
	v_cvt_f16_f32_e32 v8, v21
	v_cvt_f16_f32_e32 v9, v22
	;; [unrolled: 1-line block ×4, first 2 shown]
	s_waitcnt lgkmcnt(0)
	buffer_store_b128 v[2:5], v7, s[0:3], 0 offen offset:256
	v_cvt_f16_f32_e32 v2, v17
	v_cvt_f16_f32_e32 v3, v18
	;; [unrolled: 1-line block ×4, first 2 shown]
	s_waitcnt lgkmcnt(0)
	s_waitcnt_vscnt null, 0x0
	s_barrier
	ds_store_b16 v0, v2
	ds_store_b16 v0, v3 offset:128
	ds_store_b16 v0, v4 offset:256
	ds_store_b16 v0, v5 offset:384
	ds_store_b16 v0, v8 offset:512
	ds_store_b16 v0, v9 offset:640
	ds_store_b16 v0, v10 offset:768
	ds_store_b16 v0, v11 offset:896
	s_waitcnt lgkmcnt(0)
	s_barrier
	ds_load_2addr_b64 v[2:5], v1 offset1:1
	v_add_nc_u32_e32 v8, 0xc0, v6
	s_delay_alu instid0(VALU_DEP_1)
	v_lshlrev_b32_e32 v9, 1, v8
	s_waitcnt lgkmcnt(0)
	s_clause 0x1
	buffer_store_b64 v[2:3], v9, s[0:3], 0 offen
	buffer_store_b64 v[4:5], v7, s[0:3], 0 offen offset:392
	s_waitcnt lgkmcnt(0)
	s_waitcnt_vscnt null, 0x0
	s_barrier
	s_clause 0x1
	scratch_load_b128 v[9:12], off, off offset:928
	scratch_load_b128 v[13:16], off, off offset:944
	s_waitcnt vmcnt(1)
	v_cvt_f16_f32_e32 v2, v9
	v_cvt_f16_f32_e32 v3, v10
	;; [unrolled: 1-line block ×4, first 2 shown]
	ds_store_b16 v0, v2
	ds_store_b16 v0, v3 offset:128
	ds_store_b16 v0, v4 offset:256
	ds_store_b16 v0, v5 offset:384
	s_waitcnt vmcnt(0)
	v_cvt_f16_f32_e32 v7, v13
	v_cvt_f16_f32_e32 v9, v14
	;; [unrolled: 1-line block ×4, first 2 shown]
	ds_store_b16 v0, v7 offset:512
	ds_store_b16 v0, v9 offset:640
	;; [unrolled: 1-line block ×4, first 2 shown]
	s_waitcnt lgkmcnt(0)
	s_barrier
	ds_load_2addr_b64 v[2:5], v1 offset1:1
	v_add_lshl_u32 v7, v8, s4, 1
	s_waitcnt lgkmcnt(0)
	buffer_store_b128 v[2:5], v7, s[0:3], 0 offen
	s_waitcnt lgkmcnt(0)
	s_waitcnt_vscnt null, 0x0
	s_barrier
	s_clause 0x1
	scratch_load_b128 v[8:11], off, off offset:32
	scratch_load_b128 v[12:15], off, off offset:48
	s_waitcnt vmcnt(1)
	v_cvt_f16_f32_e32 v2, v8
	v_cvt_f16_f32_e32 v3, v9
	;; [unrolled: 1-line block ×4, first 2 shown]
	ds_store_b16 v0, v2
	ds_store_b16 v0, v3 offset:128
	ds_store_b16 v0, v4 offset:256
	;; [unrolled: 1-line block ×3, first 2 shown]
	s_waitcnt vmcnt(0)
	v_cvt_f16_f32_e32 v8, v12
	v_cvt_f16_f32_e32 v9, v13
	;; [unrolled: 1-line block ×4, first 2 shown]
	ds_store_b16 v0, v8 offset:512
	ds_store_b16 v0, v9 offset:640
	;; [unrolled: 1-line block ×4, first 2 shown]
	s_waitcnt lgkmcnt(0)
	s_barrier
	ds_load_2addr_b64 v[2:5], v1 offset1:1
	v_add_nc_u32_e32 v8, 0xffffff80, v7
	v_add_nc_u32_e32 v9, 0xffffff88, v7
	s_waitcnt lgkmcnt(0)
	s_clause 0x1
	buffer_store_b64 v[2:3], v8, s[0:3], 0 offen
	buffer_store_b64 v[4:5], v9, s[0:3], 0 offen
	s_waitcnt lgkmcnt(0)
	s_waitcnt_vscnt null, 0x0
	s_barrier
	s_clause 0x1
	scratch_load_b128 v[8:11], off, off offset:192
	scratch_load_b128 v[12:15], off, off offset:208
	s_waitcnt vmcnt(1)
	v_cvt_f16_f32_e32 v2, v8
	v_cvt_f16_f32_e32 v3, v9
	;; [unrolled: 1-line block ×4, first 2 shown]
	ds_store_b16 v0, v2
	ds_store_b16 v0, v3 offset:128
	ds_store_b16 v0, v4 offset:256
	;; [unrolled: 1-line block ×3, first 2 shown]
	s_waitcnt vmcnt(0)
	v_cvt_f16_f32_e32 v8, v12
	v_cvt_f16_f32_e32 v9, v13
	;; [unrolled: 1-line block ×4, first 2 shown]
	ds_store_b16 v0, v8 offset:512
	ds_store_b16 v0, v9 offset:640
	;; [unrolled: 1-line block ×4, first 2 shown]
	s_waitcnt lgkmcnt(0)
	s_barrier
	ds_load_2addr_b64 v[2:5], v1 offset1:1
	v_add_nc_u32_e32 v8, 0xffffff00, v7
	v_add_nc_u32_e32 v7, 0xffffff08, v7
	s_waitcnt lgkmcnt(0)
	s_clause 0x1
	buffer_store_b64 v[2:3], v8, s[0:3], 0 offen
	buffer_store_b64 v[4:5], v7, s[0:3], 0 offen
	s_waitcnt lgkmcnt(0)
	s_waitcnt_vscnt null, 0x0
	s_barrier
	s_clause 0x1
	scratch_load_b128 v[7:10], off, off offset:64
	scratch_load_b128 v[11:14], off, off offset:80
	s_waitcnt vmcnt(1)
	v_cvt_f16_f32_e32 v2, v7
	v_cvt_f16_f32_e32 v3, v8
	;; [unrolled: 1-line block ×4, first 2 shown]
	ds_store_b16 v0, v2
	ds_store_b16 v0, v3 offset:128
	ds_store_b16 v0, v4 offset:256
	ds_store_b16 v0, v5 offset:384
	v_add_lshl_u32 v4, v6, s4, 1
	s_waitcnt vmcnt(0)
	v_cvt_f16_f32_e32 v7, v11
	v_cvt_f16_f32_e32 v8, v12
	;; [unrolled: 1-line block ×4, first 2 shown]
	ds_store_b16 v0, v7 offset:512
	ds_store_b16 v0, v8 offset:640
	;; [unrolled: 1-line block ×4, first 2 shown]
	s_waitcnt lgkmcnt(0)
	s_barrier
	ds_load_2addr_b64 v[0:3], v1 offset1:1
	s_waitcnt lgkmcnt(0)
	buffer_store_b128 v[0:3], v4, s[0:3], 0 offen
	s_nop 0
	s_sendmsg sendmsg(MSG_DEALLOC_VGPRS)
	s_endpgm
	.section	.rodata,"a",@progbits
	.p2align	6, 0x0
	.amdhsa_kernel _ZN2ck27kernel_gemm_xdl_cshuffle_v2INS_28GridwiseGemm_xdl_cshuffle_v2INS_13tensor_layout4gemm8RowMajorES4_S4_DF16_DF16_fDF16_DF16_NS_16tensor_operation12element_wise11PassThroughES7_S7_LNS5_6device18GemmSpecializationE0ELNS_25InMemoryDataOperationEnumE0ELi2ELi256ELi256ELi256ELi32ELi8ELi4ELi16ELi16ELi8ELi4ENS_8SequenceIJLi4ELi64ELi1EEEENSB_IJLi1ELi0ELi2EEEESD_Li2ELi8ELi8ELb0ELi0ENSB_IJLi8ELi32ELi1EEEENSB_IJLi0ELi2ELi1EEEESF_Li1ELi8ELi4ELb0ELi0ELi1ELi1ENSB_IJLi1ELi32ELi1ELi8EEEELi4ELNS_13LoopSchedulerE0ELNS_15PipelineVersionE0EDF16_DF16_EELb1ELi2EEEvNT_8ArgumentE
		.amdhsa_group_segment_fixed_size 65536
		.amdhsa_private_segment_fixed_size 1720
		.amdhsa_kernarg_size 96
		.amdhsa_user_sgpr_count 15
		.amdhsa_user_sgpr_dispatch_ptr 0
		.amdhsa_user_sgpr_queue_ptr 0
		.amdhsa_user_sgpr_kernarg_segment_ptr 1
		.amdhsa_user_sgpr_dispatch_id 0
		.amdhsa_user_sgpr_private_segment_size 0
		.amdhsa_wavefront_size32 1
		.amdhsa_uses_dynamic_stack 0
		.amdhsa_enable_private_segment 1
		.amdhsa_system_sgpr_workgroup_id_x 1
		.amdhsa_system_sgpr_workgroup_id_y 0
		.amdhsa_system_sgpr_workgroup_id_z 0
		.amdhsa_system_sgpr_workgroup_info 0
		.amdhsa_system_vgpr_workitem_id 0
		.amdhsa_next_free_vgpr 256
		.amdhsa_next_free_sgpr 25
		.amdhsa_reserve_vcc 0
		.amdhsa_float_round_mode_32 0
		.amdhsa_float_round_mode_16_64 0
		.amdhsa_float_denorm_mode_32 3
		.amdhsa_float_denorm_mode_16_64 3
		.amdhsa_dx10_clamp 1
		.amdhsa_ieee_mode 1
		.amdhsa_fp16_overflow 0
		.amdhsa_workgroup_processor_mode 1
		.amdhsa_memory_ordered 1
		.amdhsa_forward_progress 0
		.amdhsa_shared_vgpr_count 0
		.amdhsa_exception_fp_ieee_invalid_op 0
		.amdhsa_exception_fp_denorm_src 0
		.amdhsa_exception_fp_ieee_div_zero 0
		.amdhsa_exception_fp_ieee_overflow 0
		.amdhsa_exception_fp_ieee_underflow 0
		.amdhsa_exception_fp_ieee_inexact 0
		.amdhsa_exception_int_div_zero 0
	.end_amdhsa_kernel
	.section	.text._ZN2ck27kernel_gemm_xdl_cshuffle_v2INS_28GridwiseGemm_xdl_cshuffle_v2INS_13tensor_layout4gemm8RowMajorES4_S4_DF16_DF16_fDF16_DF16_NS_16tensor_operation12element_wise11PassThroughES7_S7_LNS5_6device18GemmSpecializationE0ELNS_25InMemoryDataOperationEnumE0ELi2ELi256ELi256ELi256ELi32ELi8ELi4ELi16ELi16ELi8ELi4ENS_8SequenceIJLi4ELi64ELi1EEEENSB_IJLi1ELi0ELi2EEEESD_Li2ELi8ELi8ELb0ELi0ENSB_IJLi8ELi32ELi1EEEENSB_IJLi0ELi2ELi1EEEESF_Li1ELi8ELi4ELb0ELi0ELi1ELi1ENSB_IJLi1ELi32ELi1ELi8EEEELi4ELNS_13LoopSchedulerE0ELNS_15PipelineVersionE0EDF16_DF16_EELb1ELi2EEEvNT_8ArgumentE,"axG",@progbits,_ZN2ck27kernel_gemm_xdl_cshuffle_v2INS_28GridwiseGemm_xdl_cshuffle_v2INS_13tensor_layout4gemm8RowMajorES4_S4_DF16_DF16_fDF16_DF16_NS_16tensor_operation12element_wise11PassThroughES7_S7_LNS5_6device18GemmSpecializationE0ELNS_25InMemoryDataOperationEnumE0ELi2ELi256ELi256ELi256ELi32ELi8ELi4ELi16ELi16ELi8ELi4ENS_8SequenceIJLi4ELi64ELi1EEEENSB_IJLi1ELi0ELi2EEEESD_Li2ELi8ELi8ELb0ELi0ENSB_IJLi8ELi32ELi1EEEENSB_IJLi0ELi2ELi1EEEESF_Li1ELi8ELi4ELb0ELi0ELi1ELi1ENSB_IJLi1ELi32ELi1ELi8EEEELi4ELNS_13LoopSchedulerE0ELNS_15PipelineVersionE0EDF16_DF16_EELb1ELi2EEEvNT_8ArgumentE,comdat
.Lfunc_end4:
	.size	_ZN2ck27kernel_gemm_xdl_cshuffle_v2INS_28GridwiseGemm_xdl_cshuffle_v2INS_13tensor_layout4gemm8RowMajorES4_S4_DF16_DF16_fDF16_DF16_NS_16tensor_operation12element_wise11PassThroughES7_S7_LNS5_6device18GemmSpecializationE0ELNS_25InMemoryDataOperationEnumE0ELi2ELi256ELi256ELi256ELi32ELi8ELi4ELi16ELi16ELi8ELi4ENS_8SequenceIJLi4ELi64ELi1EEEENSB_IJLi1ELi0ELi2EEEESD_Li2ELi8ELi8ELb0ELi0ENSB_IJLi8ELi32ELi1EEEENSB_IJLi0ELi2ELi1EEEESF_Li1ELi8ELi4ELb0ELi0ELi1ELi1ENSB_IJLi1ELi32ELi1ELi8EEEELi4ELNS_13LoopSchedulerE0ELNS_15PipelineVersionE0EDF16_DF16_EELb1ELi2EEEvNT_8ArgumentE, .Lfunc_end4-_ZN2ck27kernel_gemm_xdl_cshuffle_v2INS_28GridwiseGemm_xdl_cshuffle_v2INS_13tensor_layout4gemm8RowMajorES4_S4_DF16_DF16_fDF16_DF16_NS_16tensor_operation12element_wise11PassThroughES7_S7_LNS5_6device18GemmSpecializationE0ELNS_25InMemoryDataOperationEnumE0ELi2ELi256ELi256ELi256ELi32ELi8ELi4ELi16ELi16ELi8ELi4ENS_8SequenceIJLi4ELi64ELi1EEEENSB_IJLi1ELi0ELi2EEEESD_Li2ELi8ELi8ELb0ELi0ENSB_IJLi8ELi32ELi1EEEENSB_IJLi0ELi2ELi1EEEESF_Li1ELi8ELi4ELb0ELi0ELi1ELi1ENSB_IJLi1ELi32ELi1ELi8EEEELi4ELNS_13LoopSchedulerE0ELNS_15PipelineVersionE0EDF16_DF16_EELb1ELi2EEEvNT_8ArgumentE
                                        ; -- End function
	.section	.AMDGPU.csdata,"",@progbits
; Kernel info:
; codeLenInByte = 24964
; NumSgprs: 25
; NumVgprs: 256
; ScratchSize: 1720
; MemoryBound: 0
; FloatMode: 240
; IeeeMode: 1
; LDSByteSize: 65536 bytes/workgroup (compile time only)
; SGPRBlocks: 3
; VGPRBlocks: 31
; NumSGPRsForWavesPerEU: 25
; NumVGPRsForWavesPerEU: 256
; Occupancy: 4
; WaveLimiterHint : 0
; COMPUTE_PGM_RSRC2:SCRATCH_EN: 1
; COMPUTE_PGM_RSRC2:USER_SGPR: 15
; COMPUTE_PGM_RSRC2:TRAP_HANDLER: 0
; COMPUTE_PGM_RSRC2:TGID_X_EN: 1
; COMPUTE_PGM_RSRC2:TGID_Y_EN: 0
; COMPUTE_PGM_RSRC2:TGID_Z_EN: 0
; COMPUTE_PGM_RSRC2:TIDIG_COMP_CNT: 0
	.section	.text._ZN2ck17naive_gemm_kernelINS_13tensor_layout4gemm8RowMajorES3_S3_DF16_DF16_DF16_fNS_16tensor_operation12element_wise11PassThroughES6_S6_DF16_DF16_EEvPKT2_PKT3_PT4_iiiT6_T7_T8_,"axG",@progbits,_ZN2ck17naive_gemm_kernelINS_13tensor_layout4gemm8RowMajorES3_S3_DF16_DF16_DF16_fNS_16tensor_operation12element_wise11PassThroughES6_S6_DF16_DF16_EEvPKT2_PKT3_PT4_iiiT6_T7_T8_,comdat
	.protected	_ZN2ck17naive_gemm_kernelINS_13tensor_layout4gemm8RowMajorES3_S3_DF16_DF16_DF16_fNS_16tensor_operation12element_wise11PassThroughES6_S6_DF16_DF16_EEvPKT2_PKT3_PT4_iiiT6_T7_T8_ ; -- Begin function _ZN2ck17naive_gemm_kernelINS_13tensor_layout4gemm8RowMajorES3_S3_DF16_DF16_DF16_fNS_16tensor_operation12element_wise11PassThroughES6_S6_DF16_DF16_EEvPKT2_PKT3_PT4_iiiT6_T7_T8_
	.globl	_ZN2ck17naive_gemm_kernelINS_13tensor_layout4gemm8RowMajorES3_S3_DF16_DF16_DF16_fNS_16tensor_operation12element_wise11PassThroughES6_S6_DF16_DF16_EEvPKT2_PKT3_PT4_iiiT6_T7_T8_
	.p2align	8
	.type	_ZN2ck17naive_gemm_kernelINS_13tensor_layout4gemm8RowMajorES3_S3_DF16_DF16_DF16_fNS_16tensor_operation12element_wise11PassThroughES6_S6_DF16_DF16_EEvPKT2_PKT3_PT4_iiiT6_T7_T8_,@function
_ZN2ck17naive_gemm_kernelINS_13tensor_layout4gemm8RowMajorES3_S3_DF16_DF16_DF16_fNS_16tensor_operation12element_wise11PassThroughES6_S6_DF16_DF16_EEvPKT2_PKT3_PT4_iiiT6_T7_T8_: ; @_ZN2ck17naive_gemm_kernelINS_13tensor_layout4gemm8RowMajorES3_S3_DF16_DF16_DF16_fNS_16tensor_operation12element_wise11PassThroughES6_S6_DF16_DF16_EEvPKT2_PKT3_PT4_iiiT6_T7_T8_
; %bb.0:
	s_clause 0x1
	s_load_b32 s2, s[0:1], 0x34
	s_load_b128 s[4:7], s[0:1], 0x18
	v_and_b32_e32 v2, 0x3ff, v0
	v_bfe_u32 v3, v0, 10, 10
	s_waitcnt lgkmcnt(0)
	s_lshr_b32 s3, s2, 16
	s_and_b32 s2, s2, 0xffff
	s_delay_alu instid0(VALU_DEP_1) | instid1(SALU_CYCLE_1)
	v_mad_u64_u32 v[0:1], null, s14, s2, v[2:3]
	v_mad_u64_u32 v[1:2], null, s15, s3, v[3:4]
	s_delay_alu instid0(VALU_DEP_2) | instskip(NEXT) | instid1(VALU_DEP_2)
	v_cmp_gt_i32_e32 vcc_lo, s4, v0
	v_cmp_gt_i32_e64 s2, s5, v1
	s_delay_alu instid0(VALU_DEP_1) | instskip(NEXT) | instid1(SALU_CYCLE_1)
	s_and_b32 s2, vcc_lo, s2
	s_and_saveexec_b32 s3, s2
	s_cbranch_execz .LBB5_7
; %bb.1:
	s_load_b64 s[8:9], s[0:1], 0x10
	s_cmp_lt_i32 s6, 1
	s_cbranch_scc1 .LBB5_5
; %bb.2:
	s_load_b128 s[0:3], s[0:1], 0x0
	v_mul_lo_u32 v2, v0, s6
	v_mov_b32_e32 v6, 0
	v_mov_b32_e32 v4, v1
	s_delay_alu instid0(VALU_DEP_3) | instskip(NEXT) | instid1(VALU_DEP_1)
	v_ashrrev_i32_e32 v3, 31, v2
	v_lshlrev_b64 v[2:3], 1, v[2:3]
	s_waitcnt lgkmcnt(0)
	s_delay_alu instid0(VALU_DEP_1) | instskip(NEXT) | instid1(VALU_DEP_2)
	v_add_co_u32 v2, vcc_lo, s0, v2
	v_add_co_ci_u32_e32 v3, vcc_lo, s1, v3, vcc_lo
	.p2align	6
.LBB5_3:                                ; =>This Inner Loop Header: Depth=1
	v_ashrrev_i32_e32 v5, 31, v4
	s_add_i32 s6, s6, -1
	s_delay_alu instid0(SALU_CYCLE_1) | instskip(NEXT) | instid1(VALU_DEP_1)
	s_cmp_eq_u32 s6, 0
	v_lshlrev_b64 v[7:8], 1, v[4:5]
	v_add_nc_u32_e32 v4, s5, v4
	s_delay_alu instid0(VALU_DEP_2) | instskip(NEXT) | instid1(VALU_DEP_3)
	v_add_co_u32 v7, vcc_lo, s2, v7
	v_add_co_ci_u32_e32 v8, vcc_lo, s3, v8, vcc_lo
	global_load_u16 v5, v[2:3], off
	global_load_u16 v7, v[7:8], off
	v_add_co_u32 v2, vcc_lo, v2, 2
	v_add_co_ci_u32_e32 v3, vcc_lo, 0, v3, vcc_lo
	s_waitcnt vmcnt(0)
	v_fma_mix_f32 v6, v5, v7, v6 op_sel_hi:[1,1,0]
	s_cbranch_scc0 .LBB5_3
; %bb.4:
	s_delay_alu instid0(VALU_DEP_1)
	v_cvt_f16_f32_e32 v2, v6
	s_branch .LBB5_6
.LBB5_5:
	v_mov_b32_e32 v2, 0
.LBB5_6:
	s_delay_alu instid0(VALU_DEP_1) | instskip(NEXT) | instid1(VALU_DEP_1)
	v_mad_u64_u32 v[3:4], null, v0, s5, v[1:2]
	v_ashrrev_i32_e32 v4, 31, v3
	s_delay_alu instid0(VALU_DEP_1) | instskip(SKIP_1) | instid1(VALU_DEP_1)
	v_lshlrev_b64 v[0:1], 1, v[3:4]
	s_waitcnt lgkmcnt(0)
	v_add_co_u32 v0, vcc_lo, s8, v0
	s_delay_alu instid0(VALU_DEP_2)
	v_add_co_ci_u32_e32 v1, vcc_lo, s9, v1, vcc_lo
	global_store_b16 v[0:1], v2, off
.LBB5_7:
	s_nop 0
	s_sendmsg sendmsg(MSG_DEALLOC_VGPRS)
	s_endpgm
	.section	.rodata,"a",@progbits
	.p2align	6, 0x0
	.amdhsa_kernel _ZN2ck17naive_gemm_kernelINS_13tensor_layout4gemm8RowMajorES3_S3_DF16_DF16_DF16_fNS_16tensor_operation12element_wise11PassThroughES6_S6_DF16_DF16_EEvPKT2_PKT3_PT4_iiiT6_T7_T8_
		.amdhsa_group_segment_fixed_size 0
		.amdhsa_private_segment_fixed_size 0
		.amdhsa_kernarg_size 296
		.amdhsa_user_sgpr_count 14
		.amdhsa_user_sgpr_dispatch_ptr 0
		.amdhsa_user_sgpr_queue_ptr 0
		.amdhsa_user_sgpr_kernarg_segment_ptr 1
		.amdhsa_user_sgpr_dispatch_id 0
		.amdhsa_user_sgpr_private_segment_size 0
		.amdhsa_wavefront_size32 1
		.amdhsa_uses_dynamic_stack 0
		.amdhsa_enable_private_segment 0
		.amdhsa_system_sgpr_workgroup_id_x 1
		.amdhsa_system_sgpr_workgroup_id_y 1
		.amdhsa_system_sgpr_workgroup_id_z 0
		.amdhsa_system_sgpr_workgroup_info 0
		.amdhsa_system_vgpr_workitem_id 1
		.amdhsa_next_free_vgpr 9
		.amdhsa_next_free_sgpr 16
		.amdhsa_reserve_vcc 1
		.amdhsa_float_round_mode_32 0
		.amdhsa_float_round_mode_16_64 0
		.amdhsa_float_denorm_mode_32 3
		.amdhsa_float_denorm_mode_16_64 3
		.amdhsa_dx10_clamp 1
		.amdhsa_ieee_mode 1
		.amdhsa_fp16_overflow 0
		.amdhsa_workgroup_processor_mode 1
		.amdhsa_memory_ordered 1
		.amdhsa_forward_progress 0
		.amdhsa_shared_vgpr_count 0
		.amdhsa_exception_fp_ieee_invalid_op 0
		.amdhsa_exception_fp_denorm_src 0
		.amdhsa_exception_fp_ieee_div_zero 0
		.amdhsa_exception_fp_ieee_overflow 0
		.amdhsa_exception_fp_ieee_underflow 0
		.amdhsa_exception_fp_ieee_inexact 0
		.amdhsa_exception_int_div_zero 0
	.end_amdhsa_kernel
	.section	.text._ZN2ck17naive_gemm_kernelINS_13tensor_layout4gemm8RowMajorES3_S3_DF16_DF16_DF16_fNS_16tensor_operation12element_wise11PassThroughES6_S6_DF16_DF16_EEvPKT2_PKT3_PT4_iiiT6_T7_T8_,"axG",@progbits,_ZN2ck17naive_gemm_kernelINS_13tensor_layout4gemm8RowMajorES3_S3_DF16_DF16_DF16_fNS_16tensor_operation12element_wise11PassThroughES6_S6_DF16_DF16_EEvPKT2_PKT3_PT4_iiiT6_T7_T8_,comdat
.Lfunc_end5:
	.size	_ZN2ck17naive_gemm_kernelINS_13tensor_layout4gemm8RowMajorES3_S3_DF16_DF16_DF16_fNS_16tensor_operation12element_wise11PassThroughES6_S6_DF16_DF16_EEvPKT2_PKT3_PT4_iiiT6_T7_T8_, .Lfunc_end5-_ZN2ck17naive_gemm_kernelINS_13tensor_layout4gemm8RowMajorES3_S3_DF16_DF16_DF16_fNS_16tensor_operation12element_wise11PassThroughES6_S6_DF16_DF16_EEvPKT2_PKT3_PT4_iiiT6_T7_T8_
                                        ; -- End function
	.section	.AMDGPU.csdata,"",@progbits
; Kernel info:
; codeLenInByte = 352
; NumSgprs: 18
; NumVgprs: 9
; ScratchSize: 0
; MemoryBound: 0
; FloatMode: 240
; IeeeMode: 1
; LDSByteSize: 0 bytes/workgroup (compile time only)
; SGPRBlocks: 2
; VGPRBlocks: 1
; NumSGPRsForWavesPerEU: 18
; NumVGPRsForWavesPerEU: 9
; Occupancy: 16
; WaveLimiterHint : 0
; COMPUTE_PGM_RSRC2:SCRATCH_EN: 0
; COMPUTE_PGM_RSRC2:USER_SGPR: 14
; COMPUTE_PGM_RSRC2:TRAP_HANDLER: 0
; COMPUTE_PGM_RSRC2:TGID_X_EN: 1
; COMPUTE_PGM_RSRC2:TGID_Y_EN: 1
; COMPUTE_PGM_RSRC2:TGID_Z_EN: 0
; COMPUTE_PGM_RSRC2:TIDIG_COMP_CNT: 1
	.text
	.p2alignl 7, 3214868480
	.fill 96, 4, 3214868480
	.type	__hip_cuid_3485b42193311e67,@object ; @__hip_cuid_3485b42193311e67
	.section	.bss,"aw",@nobits
	.globl	__hip_cuid_3485b42193311e67
__hip_cuid_3485b42193311e67:
	.byte	0                               ; 0x0
	.size	__hip_cuid_3485b42193311e67, 1

	.ident	"AMD clang version 19.0.0git (https://github.com/RadeonOpenCompute/llvm-project roc-6.4.0 25133 c7fe45cf4b819c5991fe208aaa96edf142730f1d)"
	.section	".note.GNU-stack","",@progbits
	.addrsig
	.addrsig_sym __hip_cuid_3485b42193311e67
	.amdgpu_metadata
---
amdhsa.kernels:
  - .args:           []
    .group_segment_fixed_size: 0
    .kernarg_segment_align: 4
    .kernarg_segment_size: 0
    .language:       OpenCL C
    .language_version:
      - 2
      - 0
    .max_flat_workgroup_size: 1024
    .name:           _ZN2ckL12flush_icacheEv
    .private_segment_fixed_size: 0
    .sgpr_count:     0
    .sgpr_spill_count: 0
    .symbol:         _ZN2ckL12flush_icacheEv.kd
    .uniform_work_group_size: 1
    .uses_dynamic_stack: false
    .vgpr_count:     0
    .vgpr_spill_count: 0
    .wavefront_size: 32
    .workgroup_processor_mode: 1
  - .args:
      - .offset:         0
        .size:           96
        .value_kind:     by_value
    .group_segment_fixed_size: 0
    .kernarg_segment_align: 8
    .kernarg_segment_size: 96
    .language:       OpenCL C
    .language_version:
      - 2
      - 0
    .max_flat_workgroup_size: 256
    .name:           _ZN2ck27kernel_gemm_xdl_cshuffle_v2INS_28GridwiseGemm_xdl_cshuffle_v2INS_13tensor_layout4gemm8RowMajorES4_S4_DF16_DF16_fDF16_DF16_NS_16tensor_operation12element_wise11PassThroughES7_S7_LNS5_6device18GemmSpecializationE0ELNS_25InMemoryDataOperationEnumE0ELi2ELi256ELi256ELi256ELi32ELi8ELi4ELi16ELi16ELi8ELi8ENS_8SequenceIJLi4ELi64ELi1EEEENSB_IJLi1ELi0ELi2EEEESD_Li2ELi8ELi8ELb0ELi0ENSB_IJLi8ELi32ELi1EEEENSB_IJLi0ELi2ELi1EEEESF_Li1ELi8ELi4ELb0ELi0ELi1ELi1ENSB_IJLi1ELi32ELi1ELi8EEEELi4ELNS_13LoopSchedulerE0ELNS_15PipelineVersionE0EDF16_DF16_EELb1ELi3EEEvNT_8ArgumentE
    .private_segment_fixed_size: 0
    .sgpr_count:     0
    .sgpr_spill_count: 0
    .symbol:         _ZN2ck27kernel_gemm_xdl_cshuffle_v2INS_28GridwiseGemm_xdl_cshuffle_v2INS_13tensor_layout4gemm8RowMajorES4_S4_DF16_DF16_fDF16_DF16_NS_16tensor_operation12element_wise11PassThroughES7_S7_LNS5_6device18GemmSpecializationE0ELNS_25InMemoryDataOperationEnumE0ELi2ELi256ELi256ELi256ELi32ELi8ELi4ELi16ELi16ELi8ELi8ENS_8SequenceIJLi4ELi64ELi1EEEENSB_IJLi1ELi0ELi2EEEESD_Li2ELi8ELi8ELb0ELi0ENSB_IJLi8ELi32ELi1EEEENSB_IJLi0ELi2ELi1EEEESF_Li1ELi8ELi4ELb0ELi0ELi1ELi1ENSB_IJLi1ELi32ELi1ELi8EEEELi4ELNS_13LoopSchedulerE0ELNS_15PipelineVersionE0EDF16_DF16_EELb1ELi3EEEvNT_8ArgumentE.kd
    .uniform_work_group_size: 1
    .uses_dynamic_stack: false
    .vgpr_count:     0
    .vgpr_spill_count: 0
    .wavefront_size: 32
    .workgroup_processor_mode: 1
  - .args:
      - .offset:         0
        .size:           96
        .value_kind:     by_value
    .group_segment_fixed_size: 0
    .kernarg_segment_align: 8
    .kernarg_segment_size: 96
    .language:       OpenCL C
    .language_version:
      - 2
      - 0
    .max_flat_workgroup_size: 256
    .name:           _ZN2ck27kernel_gemm_xdl_cshuffle_v2INS_28GridwiseGemm_xdl_cshuffle_v2INS_13tensor_layout4gemm8RowMajorES4_S4_DF16_DF16_fDF16_DF16_NS_16tensor_operation12element_wise11PassThroughES7_S7_LNS5_6device18GemmSpecializationE0ELNS_25InMemoryDataOperationEnumE0ELi2ELi256ELi256ELi256ELi32ELi8ELi4ELi16ELi16ELi8ELi8ENS_8SequenceIJLi4ELi64ELi1EEEENSB_IJLi1ELi0ELi2EEEESD_Li2ELi8ELi8ELb0ELi0ENSB_IJLi8ELi32ELi1EEEENSB_IJLi0ELi2ELi1EEEESF_Li1ELi8ELi4ELb0ELi0ELi1ELi1ENSB_IJLi1ELi32ELi1ELi8EEEELi4ELNS_13LoopSchedulerE0ELNS_15PipelineVersionE0EDF16_DF16_EELb1ELi2EEEvNT_8ArgumentE
    .private_segment_fixed_size: 0
    .sgpr_count:     0
    .sgpr_spill_count: 0
    .symbol:         _ZN2ck27kernel_gemm_xdl_cshuffle_v2INS_28GridwiseGemm_xdl_cshuffle_v2INS_13tensor_layout4gemm8RowMajorES4_S4_DF16_DF16_fDF16_DF16_NS_16tensor_operation12element_wise11PassThroughES7_S7_LNS5_6device18GemmSpecializationE0ELNS_25InMemoryDataOperationEnumE0ELi2ELi256ELi256ELi256ELi32ELi8ELi4ELi16ELi16ELi8ELi8ENS_8SequenceIJLi4ELi64ELi1EEEENSB_IJLi1ELi0ELi2EEEESD_Li2ELi8ELi8ELb0ELi0ENSB_IJLi8ELi32ELi1EEEENSB_IJLi0ELi2ELi1EEEESF_Li1ELi8ELi4ELb0ELi0ELi1ELi1ENSB_IJLi1ELi32ELi1ELi8EEEELi4ELNS_13LoopSchedulerE0ELNS_15PipelineVersionE0EDF16_DF16_EELb1ELi2EEEvNT_8ArgumentE.kd
    .uniform_work_group_size: 1
    .uses_dynamic_stack: false
    .vgpr_count:     0
    .vgpr_spill_count: 0
    .wavefront_size: 32
    .workgroup_processor_mode: 1
  - .args:
      - .offset:         0
        .size:           96
        .value_kind:     by_value
    .group_segment_fixed_size: 65536
    .kernarg_segment_align: 8
    .kernarg_segment_size: 96
    .language:       OpenCL C
    .language_version:
      - 2
      - 0
    .max_flat_workgroup_size: 256
    .name:           _ZN2ck27kernel_gemm_xdl_cshuffle_v2INS_28GridwiseGemm_xdl_cshuffle_v2INS_13tensor_layout4gemm8RowMajorES4_S4_DF16_DF16_fDF16_DF16_NS_16tensor_operation12element_wise11PassThroughES7_S7_LNS5_6device18GemmSpecializationE0ELNS_25InMemoryDataOperationEnumE0ELi2ELi256ELi256ELi256ELi32ELi8ELi4ELi16ELi16ELi8ELi4ENS_8SequenceIJLi4ELi64ELi1EEEENSB_IJLi1ELi0ELi2EEEESD_Li2ELi8ELi8ELb0ELi0ENSB_IJLi8ELi32ELi1EEEENSB_IJLi0ELi2ELi1EEEESF_Li1ELi8ELi4ELb0ELi0ELi1ELi1ENSB_IJLi1ELi32ELi1ELi8EEEELi4ELNS_13LoopSchedulerE0ELNS_15PipelineVersionE0EDF16_DF16_EELb1ELi3EEEvNT_8ArgumentE
    .private_segment_fixed_size: 1808
    .sgpr_count:     25
    .sgpr_spill_count: 0
    .symbol:         _ZN2ck27kernel_gemm_xdl_cshuffle_v2INS_28GridwiseGemm_xdl_cshuffle_v2INS_13tensor_layout4gemm8RowMajorES4_S4_DF16_DF16_fDF16_DF16_NS_16tensor_operation12element_wise11PassThroughES7_S7_LNS5_6device18GemmSpecializationE0ELNS_25InMemoryDataOperationEnumE0ELi2ELi256ELi256ELi256ELi32ELi8ELi4ELi16ELi16ELi8ELi4ENS_8SequenceIJLi4ELi64ELi1EEEENSB_IJLi1ELi0ELi2EEEESD_Li2ELi8ELi8ELb0ELi0ENSB_IJLi8ELi32ELi1EEEENSB_IJLi0ELi2ELi1EEEESF_Li1ELi8ELi4ELb0ELi0ELi1ELi1ENSB_IJLi1ELi32ELi1ELi8EEEELi4ELNS_13LoopSchedulerE0ELNS_15PipelineVersionE0EDF16_DF16_EELb1ELi3EEEvNT_8ArgumentE.kd
    .uniform_work_group_size: 1
    .uses_dynamic_stack: false
    .vgpr_count:     256
    .vgpr_spill_count: 2318
    .wavefront_size: 32
    .workgroup_processor_mode: 1
  - .args:
      - .offset:         0
        .size:           96
        .value_kind:     by_value
    .group_segment_fixed_size: 65536
    .kernarg_segment_align: 8
    .kernarg_segment_size: 96
    .language:       OpenCL C
    .language_version:
      - 2
      - 0
    .max_flat_workgroup_size: 256
    .name:           _ZN2ck27kernel_gemm_xdl_cshuffle_v2INS_28GridwiseGemm_xdl_cshuffle_v2INS_13tensor_layout4gemm8RowMajorES4_S4_DF16_DF16_fDF16_DF16_NS_16tensor_operation12element_wise11PassThroughES7_S7_LNS5_6device18GemmSpecializationE0ELNS_25InMemoryDataOperationEnumE0ELi2ELi256ELi256ELi256ELi32ELi8ELi4ELi16ELi16ELi8ELi4ENS_8SequenceIJLi4ELi64ELi1EEEENSB_IJLi1ELi0ELi2EEEESD_Li2ELi8ELi8ELb0ELi0ENSB_IJLi8ELi32ELi1EEEENSB_IJLi0ELi2ELi1EEEESF_Li1ELi8ELi4ELb0ELi0ELi1ELi1ENSB_IJLi1ELi32ELi1ELi8EEEELi4ELNS_13LoopSchedulerE0ELNS_15PipelineVersionE0EDF16_DF16_EELb1ELi2EEEvNT_8ArgumentE
    .private_segment_fixed_size: 1720
    .sgpr_count:     25
    .sgpr_spill_count: 0
    .symbol:         _ZN2ck27kernel_gemm_xdl_cshuffle_v2INS_28GridwiseGemm_xdl_cshuffle_v2INS_13tensor_layout4gemm8RowMajorES4_S4_DF16_DF16_fDF16_DF16_NS_16tensor_operation12element_wise11PassThroughES7_S7_LNS5_6device18GemmSpecializationE0ELNS_25InMemoryDataOperationEnumE0ELi2ELi256ELi256ELi256ELi32ELi8ELi4ELi16ELi16ELi8ELi4ENS_8SequenceIJLi4ELi64ELi1EEEENSB_IJLi1ELi0ELi2EEEESD_Li2ELi8ELi8ELb0ELi0ENSB_IJLi8ELi32ELi1EEEENSB_IJLi0ELi2ELi1EEEESF_Li1ELi8ELi4ELb0ELi0ELi1ELi1ENSB_IJLi1ELi32ELi1ELi8EEEELi4ELNS_13LoopSchedulerE0ELNS_15PipelineVersionE0EDF16_DF16_EELb1ELi2EEEvNT_8ArgumentE.kd
    .uniform_work_group_size: 1
    .uses_dynamic_stack: false
    .vgpr_count:     256
    .vgpr_spill_count: 2018
    .wavefront_size: 32
    .workgroup_processor_mode: 1
  - .args:
      - .actual_access:  read_only
        .address_space:  global
        .offset:         0
        .size:           8
        .value_kind:     global_buffer
      - .actual_access:  read_only
        .address_space:  global
        .offset:         8
        .size:           8
        .value_kind:     global_buffer
      - .actual_access:  write_only
        .address_space:  global
        .offset:         16
        .size:           8
        .value_kind:     global_buffer
      - .offset:         24
        .size:           4
        .value_kind:     by_value
      - .offset:         28
        .size:           4
        .value_kind:     by_value
      - .offset:         32
        .size:           4
        .value_kind:     by_value
      - .offset:         36
        .size:           1
        .value_kind:     by_value
      - .offset:         37
        .size:           1
        .value_kind:     by_value
      - .offset:         38
        .size:           1
        .value_kind:     by_value
      - .offset:         40
        .size:           4
        .value_kind:     hidden_block_count_x
      - .offset:         44
        .size:           4
        .value_kind:     hidden_block_count_y
      - .offset:         48
        .size:           4
        .value_kind:     hidden_block_count_z
      - .offset:         52
        .size:           2
        .value_kind:     hidden_group_size_x
      - .offset:         54
        .size:           2
        .value_kind:     hidden_group_size_y
      - .offset:         56
        .size:           2
        .value_kind:     hidden_group_size_z
      - .offset:         58
        .size:           2
        .value_kind:     hidden_remainder_x
      - .offset:         60
        .size:           2
        .value_kind:     hidden_remainder_y
      - .offset:         62
        .size:           2
        .value_kind:     hidden_remainder_z
      - .offset:         80
        .size:           8
        .value_kind:     hidden_global_offset_x
      - .offset:         88
        .size:           8
        .value_kind:     hidden_global_offset_y
      - .offset:         96
        .size:           8
        .value_kind:     hidden_global_offset_z
      - .offset:         104
        .size:           2
        .value_kind:     hidden_grid_dims
    .group_segment_fixed_size: 0
    .kernarg_segment_align: 8
    .kernarg_segment_size: 296
    .language:       OpenCL C
    .language_version:
      - 2
      - 0
    .max_flat_workgroup_size: 256
    .name:           _ZN2ck17naive_gemm_kernelINS_13tensor_layout4gemm8RowMajorES3_S3_DF16_DF16_DF16_fNS_16tensor_operation12element_wise11PassThroughES6_S6_DF16_DF16_EEvPKT2_PKT3_PT4_iiiT6_T7_T8_
    .private_segment_fixed_size: 0
    .sgpr_count:     18
    .sgpr_spill_count: 0
    .symbol:         _ZN2ck17naive_gemm_kernelINS_13tensor_layout4gemm8RowMajorES3_S3_DF16_DF16_DF16_fNS_16tensor_operation12element_wise11PassThroughES6_S6_DF16_DF16_EEvPKT2_PKT3_PT4_iiiT6_T7_T8_.kd
    .uniform_work_group_size: 1
    .uses_dynamic_stack: false
    .vgpr_count:     9
    .vgpr_spill_count: 0
    .wavefront_size: 32
    .workgroup_processor_mode: 1
amdhsa.target:   amdgcn-amd-amdhsa--gfx1100
amdhsa.version:
  - 1
  - 2
...

	.end_amdgpu_metadata
